;; amdgpu-corpus repo=ROCm/rocFFT kind=compiled arch=gfx906 opt=O3
	.text
	.amdgcn_target "amdgcn-amd-amdhsa--gfx906"
	.amdhsa_code_object_version 6
	.protected	bluestein_single_back_len1088_dim1_sp_op_CI_CI ; -- Begin function bluestein_single_back_len1088_dim1_sp_op_CI_CI
	.globl	bluestein_single_back_len1088_dim1_sp_op_CI_CI
	.p2align	8
	.type	bluestein_single_back_len1088_dim1_sp_op_CI_CI,@function
bluestein_single_back_len1088_dim1_sp_op_CI_CI: ; @bluestein_single_back_len1088_dim1_sp_op_CI_CI
; %bb.0:
	v_mul_u32_u24_e32 v1, 0x3c4, v0
	s_load_dwordx4 s[0:3], s[4:5], 0x28
	v_lshrrev_b32_e32 v1, 16, v1
	v_mad_u64_u32 v[60:61], s[6:7], s6, 3, v[1:2]
	v_mov_b32_e32 v61, 0
	s_waitcnt lgkmcnt(0)
	v_cmp_gt_u64_e32 vcc, s[0:1], v[60:61]
	s_and_saveexec_b64 s[0:1], vcc
	s_cbranch_execz .LBB0_15
; %bb.1:
	s_mov_b32 s0, 0xaaaaaaab
	v_mul_hi_u32 v2, v60, s0
	v_mul_lo_u16_e32 v1, 0x44, v1
	v_sub_u16_e32 v113, v0, v1
	s_load_dwordx2 s[12:13], s[4:5], 0x0
	s_load_dwordx2 s[14:15], s[4:5], 0x38
	v_lshrrev_b32_e32 v0, 1, v2
	v_lshl_add_u32 v0, v0, 1, v0
	v_sub_u32_e32 v0, v60, v0
	v_mul_u32_u24_e32 v116, 0x440, v0
	v_or_b32_e32 v0, v116, v113
	v_cmp_gt_u16_e32 vcc, 64, v113
	v_lshlrev_b32_e32 v114, 3, v113
	v_lshlrev_b32_e32 v117, 3, v0
	v_or_b32_e32 v115, 64, v113
	s_and_saveexec_b64 s[6:7], vcc
	s_cbranch_execz .LBB0_3
; %bb.2:
	s_load_dwordx2 s[0:1], s[4:5], 0x18
	v_mov_b32_e32 v8, s3
	v_or_b32_e32 v46, 0x280, v113
	v_or_b32_e32 v50, 0x2c0, v113
	;; [unrolled: 1-line block ×3, first 2 shown]
	s_waitcnt lgkmcnt(0)
	s_load_dwordx4 s[8:11], s[0:1], 0x0
	v_or_b32_e32 v58, 0x340, v113
	v_or_b32_e32 v64, 0x380, v113
	;; [unrolled: 1-line block ×4, first 2 shown]
	s_waitcnt lgkmcnt(0)
	v_mad_u64_u32 v[0:1], s[0:1], s10, v60, 0
	v_mad_u64_u32 v[2:3], s[0:1], s8, v113, 0
	;; [unrolled: 1-line block ×5, first 2 shown]
	v_mov_b32_e32 v1, v4
	v_lshlrev_b64 v[0:1], 3, v[0:1]
	v_mov_b32_e32 v3, v5
	v_add_co_u32_e64 v59, s[0:1], s2, v0
	v_addc_co_u32_e64 v69, s[0:1], v8, v1, s[0:1]
	v_mov_b32_e32 v0, v7
	v_or_b32_e32 v8, 0x80, v113
	v_mad_u64_u32 v[0:1], s[0:1], s9, v115, v[0:1]
	v_mad_u64_u32 v[4:5], s[0:1], s8, v8, 0
	v_lshlrev_b64 v[2:3], 3, v[2:3]
	v_mov_b32_e32 v7, v0
	v_add_co_u32_e64 v1, s[0:1], v59, v2
	v_mov_b32_e32 v0, v5
	v_addc_co_u32_e64 v2, s[0:1], v69, v3, s[0:1]
	v_mad_u64_u32 v[8:9], s[0:1], s9, v8, v[0:1]
	v_lshlrev_b64 v[6:7], 3, v[6:7]
	v_mov_b32_e32 v5, v8
	v_add_co_u32_e64 v6, s[0:1], v59, v6
	v_lshlrev_b64 v[3:4], 3, v[4:5]
	v_or_b32_e32 v5, 0xc0, v113
	v_addc_co_u32_e64 v7, s[0:1], v69, v7, s[0:1]
	v_mad_u64_u32 v[8:9], s[0:1], s8, v5, 0
	v_add_co_u32_e64 v3, s[0:1], v59, v3
	v_mov_b32_e32 v0, v9
	v_addc_co_u32_e64 v4, s[0:1], v69, v4, s[0:1]
	v_mad_u64_u32 v[9:10], s[0:1], s9, v5, v[0:1]
	v_or_b32_e32 v5, 0x100, v113
	v_mad_u64_u32 v[16:17], s[0:1], s8, v5, 0
	v_lshlrev_b64 v[8:9], 3, v[8:9]
	global_load_dwordx2 v[10:11], v114, s[12:13]
	global_load_dwordx2 v[12:13], v114, s[12:13] offset:512
	global_load_dwordx2 v[14:15], v114, s[12:13] offset:1024
	v_add_co_u32_e64 v8, s[0:1], v59, v8
	v_mov_b32_e32 v0, v17
	v_addc_co_u32_e64 v9, s[0:1], v69, v9, s[0:1]
	v_mad_u64_u32 v[17:18], s[0:1], s9, v5, v[0:1]
	v_or_b32_e32 v5, 0x140, v113
	v_mad_u64_u32 v[18:19], s[0:1], s8, v5, 0
	global_load_dwordx2 v[20:21], v[1:2], off
	global_load_dwordx2 v[22:23], v[6:7], off
	;; [unrolled: 1-line block ×4, first 2 shown]
	v_or_b32_e32 v7, 0x180, v113
	v_mov_b32_e32 v2, v19
	v_mad_u64_u32 v[2:3], s[0:1], s9, v5, v[2:3]
	v_mad_u64_u32 v[3:4], s[0:1], s8, v7, 0
	v_lshlrev_b64 v[0:1], 3, v[16:17]
	v_mov_b32_e32 v19, v2
	v_add_co_u32_e64 v0, s[0:1], v59, v0
	v_mov_b32_e32 v2, v4
	v_addc_co_u32_e64 v1, s[0:1], v69, v1, s[0:1]
	v_mad_u64_u32 v[7:8], s[0:1], s9, v7, v[2:3]
	v_lshlrev_b64 v[5:6], 3, v[18:19]
	v_or_b32_e32 v9, 0x1c0, v113
	v_add_co_u32_e64 v5, s[0:1], v59, v5
	v_addc_co_u32_e64 v6, s[0:1], v69, v6, s[0:1]
	v_mov_b32_e32 v4, v7
	v_mad_u64_u32 v[7:8], s[0:1], s8, v9, 0
	v_lshlrev_b64 v[2:3], 3, v[3:4]
	global_load_dwordx2 v[16:17], v114, s[12:13] offset:1536
	global_load_dwordx2 v[18:19], v114, s[12:13] offset:2048
	;; [unrolled: 1-line block ×4, first 2 shown]
	v_add_co_u32_e64 v2, s[0:1], v59, v2
	v_mov_b32_e32 v4, v8
	v_addc_co_u32_e64 v3, s[0:1], v69, v3, s[0:1]
	v_mad_u64_u32 v[8:9], s[0:1], s9, v9, v[4:5]
	v_or_b32_e32 v9, 0x200, v113
	v_mad_u64_u32 v[32:33], s[0:1], s8, v9, 0
	v_lshlrev_b64 v[7:8], 3, v[7:8]
	v_add_co_u32_e64 v7, s[0:1], v59, v7
	v_mov_b32_e32 v4, v33
	v_addc_co_u32_e64 v8, s[0:1], v69, v8, s[0:1]
	v_mad_u64_u32 v[33:34], s[0:1], s9, v9, v[4:5]
	global_load_dwordx2 v[34:35], v[0:1], off
	global_load_dwordx2 v[36:37], v[5:6], off
	;; [unrolled: 1-line block ×4, first 2 shown]
	global_load_dwordx2 v[42:43], v114, s[12:13] offset:3584
	v_lshlrev_b64 v[0:1], 3, v[32:33]
	v_or_b32_e32 v32, 0x240, v113
	v_mad_u64_u32 v[2:3], s[0:1], s8, v32, 0
	v_add_co_u32_e64 v0, s[0:1], v59, v0
	v_addc_co_u32_e64 v1, s[0:1], v69, v1, s[0:1]
	v_mad_u64_u32 v[3:4], s[0:1], s9, v32, v[3:4]
	v_mad_u64_u32 v[6:7], s[0:1], s8, v46, 0
	v_lshlrev_b64 v[2:3], 3, v[2:3]
	v_lshlrev_b32_e32 v4, 3, v9
	v_add_co_u32_e64 v2, s[0:1], v59, v2
	v_addc_co_u32_e64 v3, s[0:1], v69, v3, s[0:1]
	v_mad_u64_u32 v[7:8], s[0:1], s9, v46, v[7:8]
	v_lshlrev_b32_e32 v8, 3, v32
	v_mad_u64_u32 v[32:33], s[0:1], s8, v50, 0
	v_lshlrev_b64 v[6:7], 3, v[6:7]
	global_load_dwordx2 v[4:5], v4, s[12:13]
	v_add_co_u32_e64 v6, s[0:1], v59, v6
	global_load_dwordx2 v[8:9], v8, s[12:13]
	v_addc_co_u32_e64 v7, s[0:1], v69, v7, s[0:1]
	v_mad_u64_u32 v[47:48], s[0:1], s8, v54, 0
	global_load_dwordx2 v[0:1], v[0:1], off
	s_waitcnt vmcnt(15)
	v_mul_f32_e32 v71, v21, v11
	global_load_dwordx2 v[2:3], v[2:3], off
	v_mul_f32_e32 v11, v20, v11
	global_load_dwordx2 v[6:7], v[6:7], off
	v_fmac_f32_e32 v71, v20, v10
	v_fma_f32 v72, v21, v10, -v11
	s_waitcnt vmcnt(16)
	v_mul_f32_e32 v10, v23, v13
	v_mul_f32_e32 v11, v22, v13
	v_fmac_f32_e32 v10, v22, v12
	v_fma_f32 v11, v23, v12, -v11
	s_waitcnt vmcnt(15)
	v_mul_f32_e32 v12, v25, v15
	v_mul_f32_e32 v13, v24, v15
	v_lshl_add_u32 v20, v116, 3, v114
	v_fmac_f32_e32 v12, v24, v14
	v_fma_f32 v13, v25, v14, -v13
	ds_write_b64 v117, v[71:72]
	ds_write2st64_b64 v20, v[10:11], v[12:13] offset0:1 offset1:2
	s_waitcnt vmcnt(13)
	v_mul_f32_e32 v10, v27, v17
	v_mul_f32_e32 v11, v26, v17
	v_fmac_f32_e32 v10, v26, v16
	v_fma_f32 v11, v27, v16, -v11
	s_waitcnt vmcnt(9)
	v_mad_u64_u32 v[44:45], s[0:1], s9, v50, v[33:34]
	v_lshlrev_b32_e32 v33, 3, v46
	global_load_dwordx2 v[45:46], v33, s[12:13]
	v_mov_b32_e32 v33, v44
	v_lshlrev_b64 v[32:33], 3, v[32:33]
	v_mov_b32_e32 v44, v48
	v_add_co_u32_e64 v32, s[0:1], v59, v32
	v_addc_co_u32_e64 v33, s[0:1], v69, v33, s[0:1]
	global_load_dwordx2 v[32:33], v[32:33], off
	v_mad_u64_u32 v[51:52], s[0:1], s8, v58, 0
	v_mul_f32_e32 v12, v35, v19
	v_mul_f32_e32 v13, v34, v19
	v_fmac_f32_e32 v12, v34, v18
	v_fma_f32 v13, v35, v18, -v13
	ds_write2st64_b64 v20, v[10:11], v[12:13] offset0:3 offset1:4
	s_waitcnt vmcnt(10)
	v_mul_f32_e32 v10, v37, v29
	v_mul_f32_e32 v11, v36, v29
	s_waitcnt vmcnt(9)
	v_mul_f32_e32 v12, v39, v31
	v_mul_f32_e32 v13, v38, v31
	v_fmac_f32_e32 v10, v36, v28
	v_fma_f32 v11, v37, v28, -v11
	v_fmac_f32_e32 v12, v38, v30
	v_fma_f32 v13, v39, v30, -v13
	ds_write2st64_b64 v20, v[10:11], v[12:13] offset0:5 offset1:6
	s_waitcnt vmcnt(7)
	v_mul_f32_e32 v10, v41, v43
	v_mul_f32_e32 v11, v40, v43
	v_fmac_f32_e32 v10, v40, v42
	v_fma_f32 v11, v41, v42, -v11
	s_waitcnt vmcnt(4)
	v_mul_f32_e32 v12, v1, v5
	v_fmac_f32_e32 v12, v0, v4
	v_mul_f32_e32 v0, v0, v5
	v_fma_f32 v13, v1, v4, -v0
	s_waitcnt vmcnt(3)
	v_mul_f32_e32 v0, v3, v9
	v_mul_f32_e32 v1, v2, v9
	v_fmac_f32_e32 v0, v2, v8
	v_fma_f32 v1, v3, v8, -v1
	ds_write2st64_b64 v20, v[10:11], v[12:13] offset0:7 offset1:8
	s_waitcnt vmcnt(1)
	v_mad_u64_u32 v[48:49], s[0:1], s9, v54, v[44:45]
	v_lshlrev_b32_e32 v44, 3, v50
	global_load_dwordx2 v[49:50], v44, s[12:13]
	v_lshlrev_b64 v[47:48], 3, v[47:48]
	v_mov_b32_e32 v44, v52
	v_add_co_u32_e64 v47, s[0:1], v59, v47
	v_addc_co_u32_e64 v48, s[0:1], v69, v48, s[0:1]
	v_mad_u64_u32 v[52:53], s[0:1], s9, v58, v[44:45]
	v_mad_u64_u32 v[55:56], s[0:1], s8, v64, 0
	v_lshlrev_b64 v[51:52], 3, v[51:52]
	v_lshlrev_b32_e32 v44, 3, v54
	global_load_dwordx2 v[53:54], v44, s[12:13]
	v_add_co_u32_e64 v51, s[0:1], v59, v51
	v_mov_b32_e32 v44, v56
	v_addc_co_u32_e64 v52, s[0:1], v69, v52, s[0:1]
	v_mad_u64_u32 v[56:57], s[0:1], s9, v64, v[44:45]
	v_mad_u64_u32 v[61:62], s[0:1], s8, v68, 0
	v_lshlrev_b64 v[55:56], 3, v[55:56]
	v_lshlrev_b32_e32 v44, 3, v58
	global_load_dwordx2 v[57:58], v44, s[12:13]
	v_add_co_u32_e64 v55, s[0:1], v59, v55
	v_mov_b32_e32 v44, v62
	;; [unrolled: 8-line block ×3, first 2 shown]
	v_addc_co_u32_e64 v62, s[0:1], v69, v62, s[0:1]
	v_mad_u64_u32 v[66:67], s[0:1], s9, v70, v[44:45]
	global_load_dwordx2 v[47:48], v[47:48], off
	v_lshlrev_b32_e32 v44, 3, v68
	global_load_dwordx2 v[51:52], v[51:52], off
	v_lshlrev_b64 v[65:66], 3, v[65:66]
	global_load_dwordx2 v[55:56], v[55:56], off
	v_add_co_u32_e64 v65, s[0:1], v59, v65
	global_load_dwordx2 v[61:62], v[61:62], off
	v_addc_co_u32_e64 v66, s[0:1], v69, v66, s[0:1]
	global_load_dwordx2 v[67:68], v44, s[12:13]
	v_lshlrev_b32_e32 v44, 3, v70
	global_load_dwordx2 v[65:66], v[65:66], off
	v_mul_f32_e32 v2, v7, v46
	global_load_dwordx2 v[69:70], v44, s[12:13]
	v_mul_f32_e32 v3, v6, v46
	v_fmac_f32_e32 v2, v6, v45
	v_fma_f32 v3, v7, v45, -v3
	ds_write2st64_b64 v20, v[0:1], v[2:3] offset0:9 offset1:10
	s_waitcnt vmcnt(10)
	v_mul_f32_e32 v0, v33, v50
	v_mul_f32_e32 v1, v32, v50
	v_fmac_f32_e32 v0, v32, v49
	v_fma_f32 v1, v33, v49, -v1
	s_waitcnt vmcnt(6)
	v_mul_f32_e32 v2, v48, v54
	v_mul_f32_e32 v3, v47, v54
	v_fmac_f32_e32 v2, v47, v53
	v_fma_f32 v3, v48, v53, -v3
	ds_write2st64_b64 v20, v[0:1], v[2:3] offset0:11 offset1:12
	s_waitcnt vmcnt(5)
	v_mul_f32_e32 v0, v52, v58
	v_mul_f32_e32 v1, v51, v58
	s_waitcnt vmcnt(4)
	v_mul_f32_e32 v2, v56, v64
	v_mul_f32_e32 v3, v55, v64
	v_fmac_f32_e32 v0, v51, v57
	v_fma_f32 v1, v52, v57, -v1
	v_fmac_f32_e32 v2, v55, v63
	v_fma_f32 v3, v56, v63, -v3
	ds_write2st64_b64 v20, v[0:1], v[2:3] offset0:13 offset1:14
	s_waitcnt vmcnt(2)
	v_mul_f32_e32 v0, v62, v68
	v_mul_f32_e32 v1, v61, v68
	s_waitcnt vmcnt(0)
	v_mul_f32_e32 v2, v66, v70
	v_mul_f32_e32 v3, v65, v70
	v_fmac_f32_e32 v0, v61, v67
	v_fma_f32 v1, v62, v67, -v1
	v_fmac_f32_e32 v2, v65, v69
	v_fma_f32 v3, v66, v69, -v3
	ds_write2st64_b64 v20, v[0:1], v[2:3] offset0:15 offset1:16
.LBB0_3:
	s_or_b64 exec, exec, s[6:7]
	s_load_dwordx2 s[0:1], s[4:5], 0x20
	s_load_dwordx2 s[2:3], s[4:5], 0x8
	v_mov_b32_e32 v0, 0
	v_mov_b32_e32 v1, 0
	v_lshlrev_b32_e32 v118, 3, v116
	s_waitcnt lgkmcnt(0)
	s_barrier
	s_waitcnt lgkmcnt(0)
                                        ; implicit-def: $vgpr4
                                        ; implicit-def: $vgpr32
                                        ; implicit-def: $vgpr30
                                        ; implicit-def: $vgpr26
                                        ; implicit-def: $vgpr22
                                        ; implicit-def: $vgpr18
                                        ; implicit-def: $vgpr14
                                        ; implicit-def: $vgpr10
	s_and_saveexec_b64 s[4:5], vcc
	s_cbranch_execz .LBB0_5
; %bb.4:
	v_lshl_add_u32 v2, v113, 3, v118
	ds_read_b64 v[0:1], v117
	ds_read2st64_b64 v[8:11], v2 offset0:1 offset1:2
	ds_read2st64_b64 v[12:15], v2 offset0:3 offset1:4
	;; [unrolled: 1-line block ×8, first 2 shown]
.LBB0_5:
	s_or_b64 exec, exec, s[4:5]
	s_waitcnt lgkmcnt(0)
	v_sub_f32_e32 v73, v9, v35
	v_mul_f32_e32 v63, 0xbeb8f4ab, v73
	v_sub_f32_e32 v76, v11, v33
	v_add_f32_e32 v46, v34, v8
	v_sub_f32_e32 v82, v8, v34
	v_mov_b32_e32 v2, v63
	v_mul_f32_e32 v64, 0xbf2c7751, v76
	v_add_f32_e32 v48, v35, v9
	s_mov_b32 s6, 0x3f6eb680
	v_mul_f32_e32 v67, 0xbeb8f4ab, v82
	v_fmac_f32_e32 v2, 0x3f6eb680, v46
	v_add_f32_e32 v47, v32, v10
	v_sub_f32_e32 v85, v10, v32
	v_mov_b32_e32 v36, v64
	v_add_f32_e32 v2, v2, v0
	v_fma_f32 v3, v48, s6, -v67
	v_add_f32_e32 v51, v33, v11
	s_mov_b32 s7, 0x3f3d2fb0
	v_mul_f32_e32 v69, 0xbf2c7751, v85
	v_fmac_f32_e32 v36, 0x3f3d2fb0, v47
	v_sub_f32_e32 v78, v13, v31
	v_add_f32_e32 v3, v3, v1
	v_add_f32_e32 v2, v36, v2
	v_fma_f32 v36, v51, s7, -v69
	v_mul_f32_e32 v65, 0xbf65296c, v78
	v_add_f32_e32 v3, v36, v3
	v_add_f32_e32 v49, v30, v12
	v_sub_f32_e32 v87, v12, v30
	v_mov_b32_e32 v36, v65
	v_add_f32_e32 v53, v31, v13
	s_mov_b32 s8, 0x3ee437d1
	v_mul_f32_e32 v71, 0xbf65296c, v87
	v_fmac_f32_e32 v36, 0x3ee437d1, v49
	v_sub_f32_e32 v80, v15, v29
	v_add_f32_e32 v2, v36, v2
	v_fma_f32 v36, v53, s8, -v71
	v_mul_f32_e32 v66, 0xbf7ee86f, v80
	v_add_f32_e32 v3, v36, v3
	v_add_f32_e32 v50, v28, v14
	v_sub_f32_e32 v89, v14, v28
	v_mov_b32_e32 v36, v66
	v_add_f32_e32 v55, v29, v15
	s_mov_b32 s9, 0x3dbcf732
	v_mul_f32_e32 v74, 0xbf7ee86f, v89
	v_fmac_f32_e32 v36, 0x3dbcf732, v50
	v_sub_f32_e32 v84, v17, v7
	;; [unrolled: 12-line block ×5, first 2 shown]
	v_add_f32_e32 v2, v36, v2
	v_fma_f32 v36, v61, s16, -v81
	v_mul_f32_e32 v75, 0xbe3c28d5, v90
	v_add_f32_e32 v3, v36, v3
	v_add_f32_e32 v58, v24, v22
	v_sub_f32_e32 v91, v22, v24
	v_mov_b32_e32 v36, v75
	v_add_f32_e32 v62, v25, v23
	s_mov_b32 s17, 0xbf7ba420
	v_mul_f32_e32 v83, 0xbe3c28d5, v91
	v_fmac_f32_e32 v36, 0xbf7ba420, v58
	v_add_f32_e32 v2, v36, v2
	v_fma_f32 v36, v62, s17, -v83
	v_add_f32_e32 v3, v36, v3
	s_barrier
	s_and_saveexec_b64 s[4:5], vcc
	s_cbranch_execz .LBB0_7
; %bb.6:
	v_mul_f32_e32 v96, 0x3ee437d1, v48
	v_mov_b32_e32 v36, v96
	v_mul_f32_e32 v97, 0xbf1a4643, v51
	v_fmac_f32_e32 v36, 0x3f65296c, v82
	v_mov_b32_e32 v37, v97
	v_add_f32_e32 v36, v36, v1
	v_fmac_f32_e32 v37, 0x3f4c4adb, v85
	v_mul_f32_e32 v98, 0xbf7ba420, v53
	v_add_f32_e32 v36, v37, v36
	v_mov_b32_e32 v37, v98
	v_fmac_f32_e32 v37, 0xbe3c28d5, v87
	v_mul_f32_e32 v99, 0xbe8c1d8e, v55
	v_add_f32_e32 v36, v37, v36
	v_mov_b32_e32 v37, v99
	;; [unrolled: 4-line block ×7, first 2 shown]
	v_mul_f32_e32 v104, 0xbf4c4adb, v76
	v_fmac_f32_e32 v36, 0x3ee437d1, v46
	v_mov_b32_e32 v38, v104
	v_add_f32_e32 v36, v36, v0
	v_fmac_f32_e32 v38, 0xbf1a4643, v47
	v_mul_f32_e32 v105, 0x3e3c28d5, v78
	v_add_f32_e32 v36, v38, v36
	v_mov_b32_e32 v38, v105
	v_fmac_f32_e32 v38, 0xbf7ba420, v49
	v_mul_f32_e32 v106, 0x3f763a35, v80
	v_add_f32_e32 v36, v38, v36
	v_mov_b32_e32 v38, v106
	v_fmac_f32_e32 v38, 0xbe8c1d8e, v50
	v_mul_f32_e32 v107, 0x3f2c7751, v84
	v_add_f32_e32 v36, v38, v36
	v_mov_b32_e32 v38, v107
	v_fmac_f32_e32 v38, 0x3f3d2fb0, v52
	v_mul_f32_e32 v108, 0xbeb8f4ab, v86
	v_add_f32_e32 v36, v38, v36
	v_mov_b32_e32 v38, v108
	v_fmac_f32_e32 v38, 0x3f6eb680, v54
	v_mul_f32_e32 v109, 0xbf7ee86f, v88
	v_add_f32_e32 v36, v38, v36
	v_mov_b32_e32 v38, v109
	v_fmac_f32_e32 v38, 0x3dbcf732, v56
	v_mul_f32_e32 v110, 0xbf06c442, v90
	v_add_f32_e32 v36, v38, v36
	v_mov_b32_e32 v38, v110
	v_fmac_f32_e32 v38, 0xbf59a7d5, v58
	v_mul_f32_e32 v125, 0x3dbcf732, v48
	v_add_f32_e32 v36, v38, v36
	v_mov_b32_e32 v38, v125
	v_mul_f32_e32 v126, 0xbf7ba420, v51
	v_fmac_f32_e32 v38, 0x3f7ee86f, v82
	v_mov_b32_e32 v39, v126
	v_add_f32_e32 v38, v38, v1
	v_fmac_f32_e32 v39, 0x3e3c28d5, v85
	v_mul_f32_e32 v127, 0xbe8c1d8e, v53
	v_add_f32_e32 v38, v39, v38
	v_mov_b32_e32 v39, v127
	v_fmac_f32_e32 v39, 0xbf763a35, v87
	v_mul_f32_e32 v128, 0x3f6eb680, v55
	v_add_f32_e32 v38, v39, v38
	v_mov_b32_e32 v39, v128
	v_fmac_f32_e32 v39, 0xbeb8f4ab, v89
	v_mul_f32_e32 v129, 0x3ee437d1, v57
	v_add_f32_e32 v38, v39, v38
	v_mov_b32_e32 v39, v129
	v_fmac_f32_e32 v39, 0x3f65296c, v92
	v_mul_f32_e32 v130, 0xbf59a7d5, v59
	v_add_f32_e32 v38, v39, v38
	v_mov_b32_e32 v39, v130
	v_fmac_f32_e32 v39, 0x3f06c442, v93
	v_mul_f32_e32 v131, 0xbf1a4643, v61
	v_add_f32_e32 v38, v39, v38
	v_mov_b32_e32 v39, v131
	v_fmac_f32_e32 v39, 0xbf4c4adb, v94
	v_mul_f32_e32 v132, 0xbf7ee86f, v73
	v_add_f32_e32 v38, v39, v38
	v_mov_b32_e32 v39, v132
	v_mul_f32_e32 v133, 0xbe3c28d5, v76
	v_fmac_f32_e32 v39, 0x3dbcf732, v46
	v_mov_b32_e32 v40, v133
	v_add_f32_e32 v39, v39, v0
	v_fmac_f32_e32 v40, 0xbf7ba420, v47
	v_mul_f32_e32 v134, 0x3f763a35, v78
	v_add_f32_e32 v39, v40, v39
	v_mov_b32_e32 v40, v134
	v_fmac_f32_e32 v40, 0xbe8c1d8e, v49
	v_mul_f32_e32 v135, 0x3eb8f4ab, v80
	v_add_f32_e32 v39, v40, v39
	v_mov_b32_e32 v40, v135
	v_fmac_f32_e32 v40, 0x3f6eb680, v50
	v_mul_f32_e32 v136, 0xbf65296c, v84
	v_add_f32_e32 v39, v40, v39
	v_mov_b32_e32 v40, v136
	v_fmac_f32_e32 v40, 0x3ee437d1, v52
	v_mul_f32_e32 v137, 0xbf06c442, v86
	v_add_f32_e32 v39, v40, v39
	v_mov_b32_e32 v40, v137
	v_fmac_f32_e32 v40, 0xbf59a7d5, v54
	v_mul_f32_e32 v138, 0x3f4c4adb, v88
	v_add_f32_e32 v39, v40, v39
	v_mov_b32_e32 v40, v138
	v_fmac_f32_e32 v40, 0xbf1a4643, v56
	v_mul_f32_e32 v139, 0x3f3d2fb0, v62
	v_add_f32_e32 v40, v40, v39
	v_mov_b32_e32 v39, v139
	v_fmac_f32_e32 v39, 0xbf2c7751, v91
	v_mul_f32_e32 v140, 0x3f2c7751, v90
	v_add_f32_e32 v39, v39, v38
	v_mov_b32_e32 v38, v140
	v_fmac_f32_e32 v38, 0x3f3d2fb0, v58
	v_mul_f32_e32 v123, 0xbe8c1d8e, v48
	v_add_f32_e32 v38, v38, v40
	v_mov_b32_e32 v40, v123
	v_mul_f32_e32 v124, 0xbf59a7d5, v51
	v_fmac_f32_e32 v40, 0x3f763a35, v82
	v_mov_b32_e32 v41, v124
	v_add_f32_e32 v40, v40, v1
	v_fmac_f32_e32 v41, 0xbf06c442, v85
	v_mul_f32_e32 v141, 0x3f3d2fb0, v53
	v_add_f32_e32 v40, v41, v40
	v_mov_b32_e32 v41, v141
	v_fmac_f32_e32 v41, 0xbf2c7751, v87
	v_mul_f32_e32 v142, 0x3ee437d1, v55
	v_add_f32_e32 v40, v41, v40
	v_mov_b32_e32 v41, v142
	v_fmac_f32_e32 v41, 0x3f65296c, v89
	v_mul_f32_e32 v143, 0xbf7ba420, v57
	v_add_f32_e32 v40, v41, v40
	v_mov_b32_e32 v41, v143
	v_fmac_f32_e32 v41, 0x3e3c28d5, v92
	v_mul_f32_e32 v144, 0x3dbcf732, v59
	v_add_f32_e32 v40, v41, v40
	v_mov_b32_e32 v41, v144
	v_fmac_f32_e32 v41, 0xbf7ee86f, v93
	v_mul_f32_e32 v145, 0x3f6eb680, v61
	v_add_f32_e32 v40, v41, v40
	v_mov_b32_e32 v41, v145
	v_fmac_f32_e32 v41, 0x3eb8f4ab, v94
	v_mul_f32_e32 v146, 0xbf763a35, v73
	v_add_f32_e32 v40, v41, v40
	v_mov_b32_e32 v41, v146
	v_mul_f32_e32 v147, 0x3f06c442, v76
	v_fmac_f32_e32 v41, 0xbe8c1d8e, v46
	v_mov_b32_e32 v42, v147
	v_add_f32_e32 v41, v41, v0
	v_fmac_f32_e32 v42, 0xbf59a7d5, v47
	v_mul_f32_e32 v148, 0x3f2c7751, v78
	v_add_f32_e32 v41, v42, v41
	v_mov_b32_e32 v42, v148
	;; [unrolled: 64-line block ×3, first 2 shown]
	v_fmac_f32_e32 v44, 0x3dbcf732, v49
	v_mul_f32_e32 v161, 0x3f4c4adb, v80
	v_add_f32_e32 v43, v44, v43
	v_mov_b32_e32 v44, v161
	v_fmac_f32_e32 v44, 0xbf1a4643, v50
	v_mul_f32_e32 v162, 0xbeb8f4ab, v84
	v_add_f32_e32 v43, v44, v43
	v_mov_b32_e32 v44, v162
	;; [unrolled: 4-line block ×7, first 2 shown]
	v_mul_f32_e32 v112, 0x3f6eb680, v51
	v_fmac_f32_e32 v44, 0x3e3c28d5, v82
	v_mov_b32_e32 v45, v112
	v_add_f32_e32 v44, v44, v1
	v_fmac_f32_e32 v45, 0xbeb8f4ab, v85
	v_mul_f32_e32 v167, 0xbf59a7d5, v53
	v_add_f32_e32 v44, v45, v44
	v_mov_b32_e32 v45, v167
	v_fmac_f32_e32 v119, 0xbf06c442, v82
	v_fmac_f32_e32 v45, 0x3f06c442, v87
	v_mul_f32_e32 v168, 0x3f3d2fb0, v55
	v_add_f32_e32 v119, v119, v1
	v_fmac_f32_e32 v120, 0x3f65296c, v85
	v_add_f32_e32 v44, v45, v44
	v_mov_b32_e32 v45, v168
	v_add_f32_e32 v119, v120, v119
	v_fmac_f32_e32 v121, 0xbf7ee86f, v87
	v_fma_f32 v120, v46, s16, -v158
	v_fmac_f32_e32 v45, 0xbf2c7751, v89
	v_mul_f32_e32 v169, 0xbf1a4643, v57
	v_add_f32_e32 v119, v121, v119
	v_add_f32_e32 v120, v120, v0
	v_fma_f32 v121, v47, s8, -v159
	v_add_f32_e32 v44, v45, v44
	v_mov_b32_e32 v45, v169
	v_fmac_f32_e32 v122, 0x3f4c4adb, v89
	v_add_f32_e32 v120, v121, v120
	v_fma_f32 v121, v49, s9, -v160
	v_fmac_f32_e32 v96, 0xbf65296c, v82
	v_fmac_f32_e32 v45, 0x3f4c4adb, v92
	v_mul_f32_e32 v170, 0x3ee437d1, v59
	v_add_f32_e32 v119, v122, v119
	v_fmac_f32_e32 v155, 0xbeb8f4ab, v92
	v_add_f32_e32 v120, v121, v120
	v_fma_f32 v121, v50, s11, -v161
	v_add_f32_e32 v96, v96, v1
	v_fmac_f32_e32 v97, 0xbf4c4adb, v85
	v_add_f32_e32 v44, v45, v44
	v_mov_b32_e32 v45, v170
	v_add_f32_e32 v119, v155, v119
	v_fmac_f32_e32 v156, 0xbe3c28d5, v93
	v_add_f32_e32 v120, v121, v120
	v_fma_f32 v121, v52, s6, -v162
	v_add_f32_e32 v96, v97, v96
	v_fmac_f32_e32 v98, 0x3e3c28d5, v87
	v_fma_f32 v97, v46, s8, -v103
	v_fmac_f32_e32 v45, 0xbf65296c, v93
	v_mul_f32_e32 v171, 0xbe8c1d8e, v61
	v_add_f32_e32 v119, v156, v119
	v_fmac_f32_e32 v157, 0x3f2c7751, v94
	v_add_f32_e32 v120, v121, v120
	v_fma_f32 v121, v54, s17, -v163
	v_add_f32_e32 v96, v98, v96
	v_add_f32_e32 v97, v97, v0
	v_fma_f32 v98, v47, s11, -v104
	v_add_f32_e32 v44, v45, v44
	v_mov_b32_e32 v45, v171
	v_add_f32_e32 v119, v157, v119
	v_add_f32_e32 v120, v121, v120
	v_fma_f32 v121, v56, s7, -v164
	v_fmac_f32_e32 v165, 0xbf763a35, v91
	v_fmac_f32_e32 v99, 0x3f763a35, v89
	v_add_f32_e32 v97, v98, v97
	v_fma_f32 v98, v49, s17, -v105
	v_fmac_f32_e32 v45, 0x3f763a35, v94
	v_mul_f32_e32 v172, 0xbe3c28d5, v73
	v_add_f32_e32 v121, v121, v120
	v_add_f32_e32 v120, v165, v119
	v_fma_f32 v119, v58, s10, -v166
	v_mul_f32_e32 v155, 0xbf4c4adb, v82
	v_add_f32_e32 v96, v99, v96
	v_fmac_f32_e32 v100, 0x3f2c7751, v92
	v_add_f32_e32 v97, v98, v97
	v_fma_f32 v98, v50, s10, -v106
	v_add_f32_e32 v44, v45, v44
	v_mov_b32_e32 v45, v172
	v_mul_f32_e32 v173, 0x3eb8f4ab, v76
	v_add_f32_e32 v119, v119, v121
	v_mov_b32_e32 v121, v155
	v_mul_f32_e32 v156, 0x3f763a35, v85
	v_add_f32_e32 v96, v100, v96
	v_fmac_f32_e32 v101, 0xbeb8f4ab, v93
	v_add_f32_e32 v97, v98, v97
	v_fma_f32 v98, v52, s7, -v107
	v_fmac_f32_e32 v45, 0xbf7ba420, v46
	v_mov_b32_e32 v174, v173
	v_fmac_f32_e32 v121, 0xbf1a4643, v48
	v_mov_b32_e32 v122, v156
	v_add_f32_e32 v96, v101, v96
	v_fmac_f32_e32 v102, 0xbf7ee86f, v94
	v_add_f32_e32 v97, v98, v97
	v_fma_f32 v98, v54, s6, -v108
	v_add_f32_e32 v45, v45, v0
	v_fmac_f32_e32 v174, 0x3f6eb680, v47
	v_add_f32_e32 v121, v121, v1
	v_fmac_f32_e32 v122, 0xbe8c1d8e, v51
	v_mul_f32_e32 v157, 0xbeb8f4ab, v87
	v_add_f32_e32 v96, v102, v96
	v_add_f32_e32 v97, v98, v97
	v_fma_f32 v98, v56, s9, -v109
	v_fmac_f32_e32 v95, 0xbf06c442, v91
	v_add_f32_e32 v45, v174, v45
	v_mul_f32_e32 v174, 0xbf06c442, v78
	v_fmac_f32_e32 v111, 0xbe3c28d5, v82
	v_add_f32_e32 v121, v122, v121
	v_mov_b32_e32 v122, v157
	v_fmac_f32_e32 v123, 0xbf763a35, v82
	v_fmac_f32_e32 v125, 0xbf7ee86f, v82
	v_add_f32_e32 v97, v98, v97
	v_add_f32_e32 v96, v95, v96
	v_fma_f32 v95, v58, s16, -v110
	v_mul_f32_e32 v82, 0xbf2c7751, v82
	v_mov_b32_e32 v175, v174
	v_fmac_f32_e32 v122, 0x3f6eb680, v53
	v_mul_f32_e32 v158, 0xbf06c442, v89
	v_add_f32_e32 v95, v95, v97
	v_mov_b32_e32 v97, v82
	v_mul_f32_e32 v98, 0xbf7ee86f, v85
	v_fmac_f32_e32 v175, 0xbf59a7d5, v49
	v_fmac_f32_e32 v112, 0x3eb8f4ab, v85
	v_add_f32_e32 v121, v122, v121
	v_mov_b32_e32 v122, v158
	v_fmac_f32_e32 v124, 0x3f06c442, v85
	v_fmac_f32_e32 v126, 0xbe3c28d5, v85
	;; [unrolled: 1-line block ×3, first 2 shown]
	v_mov_b32_e32 v85, v98
	v_add_f32_e32 v45, v175, v45
	v_mul_f32_e32 v175, 0x3f2c7751, v80
	v_fmac_f32_e32 v167, 0xbf06c442, v87
	v_fmac_f32_e32 v122, 0xbf59a7d5, v55
	v_mul_f32_e32 v159, 0x3f7ee86f, v92
	v_fmac_f32_e32 v141, 0x3f2c7751, v87
	v_fmac_f32_e32 v127, 0x3f763a35, v87
	v_add_f32_e32 v97, v97, v1
	v_fmac_f32_e32 v85, 0x3dbcf732, v51
	v_mul_f32_e32 v87, 0xbf4c4adb, v87
	v_mov_b32_e32 v176, v175
	v_add_f32_e32 v121, v122, v121
	v_mov_b32_e32 v122, v159
	v_add_f32_e32 v85, v85, v97
	v_mov_b32_e32 v97, v87
	v_fmac_f32_e32 v176, 0x3f3d2fb0, v50
	v_fmac_f32_e32 v168, 0x3f2c7751, v89
	;; [unrolled: 1-line block ×3, first 2 shown]
	v_mul_f32_e32 v160, 0xbf2c7751, v93
	v_fmac_f32_e32 v142, 0xbf65296c, v89
	v_fmac_f32_e32 v128, 0x3eb8f4ab, v89
	;; [unrolled: 1-line block ×3, first 2 shown]
	v_mul_f32_e32 v89, 0xbe3c28d5, v89
	v_add_f32_e32 v45, v176, v45
	v_mul_f32_e32 v176, 0xbf4c4adb, v84
	v_add_f32_e32 v121, v122, v121
	v_mov_b32_e32 v122, v160
	v_add_f32_e32 v85, v97, v85
	v_mov_b32_e32 v97, v89
	v_mov_b32_e32 v177, v176
	v_fmac_f32_e32 v169, 0xbf4c4adb, v92
	v_fmac_f32_e32 v122, 0x3f3d2fb0, v59
	v_mul_f32_e32 v161, 0xbe3c28d5, v94
	v_fmac_f32_e32 v143, 0xbe3c28d5, v92
	v_fmac_f32_e32 v129, 0xbf65296c, v92
	;; [unrolled: 1-line block ×3, first 2 shown]
	v_mul_f32_e32 v92, 0x3f06c442, v92
	v_add_f32_e32 v9, v9, v1
	v_fmac_f32_e32 v177, 0xbf1a4643, v52
	v_add_f32_e32 v111, v111, v1
	v_add_f32_e32 v121, v122, v121
	v_mov_b32_e32 v122, v161
	v_add_f32_e32 v85, v97, v85
	v_mov_b32_e32 v97, v92
	v_add_f32_e32 v9, v11, v9
	v_add_f32_e32 v45, v177, v45
	v_mul_f32_e32 v177, 0x3f65296c, v86
	v_add_f32_e32 v111, v112, v111
	v_fmac_f32_e32 v170, 0x3f65296c, v93
	v_fma_f32 v112, v46, s17, -v172
	v_fmac_f32_e32 v122, 0xbf7ba420, v61
	v_mul_f32_e32 v162, 0xbf4c4adb, v73
	v_fmac_f32_e32 v144, 0x3f7ee86f, v93
	v_fmac_f32_e32 v130, 0xbf06c442, v93
	;; [unrolled: 1-line block ×3, first 2 shown]
	v_mul_f32_e32 v93, 0x3f763a35, v93
	v_add_f32_e32 v9, v13, v9
	v_mov_b32_e32 v178, v177
	v_add_f32_e32 v111, v167, v111
	v_add_f32_e32 v112, v112, v0
	v_fma_f32 v167, v47, s6, -v173
	v_add_f32_e32 v121, v122, v121
	v_fma_f32 v122, v46, s11, -v162
	v_mul_f32_e32 v163, 0x3f763a35, v76
	v_add_f32_e32 v85, v97, v85
	v_mov_b32_e32 v97, v93
	v_add_f32_e32 v9, v15, v9
	v_fmac_f32_e32 v178, 0x3ee437d1, v54
	v_fmac_f32_e32 v171, 0xbf763a35, v94
	v_add_f32_e32 v112, v167, v112
	v_fma_f32 v167, v49, s16, -v174
	v_add_f32_e32 v122, v122, v0
	v_fma_f32 v164, v47, s10, -v163
	v_fmac_f32_e32 v145, 0xbeb8f4ab, v94
	v_fmac_f32_e32 v131, 0x3f4c4adb, v94
	;; [unrolled: 1-line block ×3, first 2 shown]
	v_mul_f32_e32 v94, 0x3f65296c, v94
	v_add_f32_e32 v9, v17, v9
	v_add_f32_e32 v45, v178, v45
	v_mul_f32_e32 v178, 0xbf763a35, v88
	v_add_f32_e32 v111, v168, v111
	v_add_f32_e32 v112, v167, v112
	v_fma_f32 v167, v50, s7, -v175
	v_add_f32_e32 v122, v164, v122
	v_mul_f32_e32 v164, 0xbeb8f4ab, v78
	v_add_f32_e32 v85, v97, v85
	v_mov_b32_e32 v97, v94
	v_add_f32_e32 v9, v19, v9
	v_mov_b32_e32 v179, v178
	v_add_f32_e32 v111, v169, v111
	v_add_f32_e32 v112, v167, v112
	v_fma_f32 v167, v52, s11, -v176
	v_fma_f32 v165, v49, s6, -v164
	v_fmac_f32_e32 v97, 0x3ee437d1, v61
	v_mul_f32_e32 v73, 0xbf2c7751, v73
	v_add_f32_e32 v9, v21, v9
	v_fmac_f32_e32 v179, 0xbe8c1d8e, v56
	v_mul_f32_e32 v180, 0x3dbcf732, v62
	v_add_f32_e32 v111, v170, v111
	v_add_f32_e32 v112, v167, v112
	v_fma_f32 v167, v54, s8, -v177
	v_add_f32_e32 v122, v165, v122
	v_mul_f32_e32 v165, 0xbf06c442, v80
	v_add_f32_e32 v85, v97, v85
	v_fma_f32 v97, v46, s7, -v73
	v_mul_f32_e32 v76, 0xbf7ee86f, v76
	v_add_f32_e32 v9, v23, v9
	v_add_f32_e32 v179, v179, v45
	v_mov_b32_e32 v45, v180
	v_mul_f32_e32 v181, 0x3f7ee86f, v90
	v_add_f32_e32 v111, v171, v111
	v_add_f32_e32 v112, v167, v112
	v_fma_f32 v167, v56, s10, -v178
	v_fmac_f32_e32 v180, 0x3f7ee86f, v91
	v_fma_f32 v166, v50, s16, -v165
	v_add_f32_e32 v97, v97, v0
	v_fma_f32 v99, v47, s9, -v76
	v_mul_f32_e32 v78, 0xbf4c4adb, v78
	v_add_f32_e32 v9, v25, v9
	v_add_f32_e32 v167, v167, v112
	;; [unrolled: 1-line block ×3, first 2 shown]
	v_fma_f32 v111, v58, s9, -v181
	v_add_f32_e32 v122, v166, v122
	v_mul_f32_e32 v166, 0x3f7ee86f, v84
	v_add_f32_e32 v97, v99, v97
	v_fma_f32 v99, v49, s11, -v78
	v_mul_f32_e32 v80, 0xbe3c28d5, v80
	v_add_f32_e32 v9, v27, v9
	v_add_f32_e32 v111, v111, v167
	v_fma_f32 v167, v52, s9, -v166
	v_add_f32_e32 v97, v99, v97
	v_fma_f32 v99, v50, s17, -v80
	v_add_f32_e32 v5, v5, v9
	v_add_f32_e32 v122, v167, v122
	v_mul_f32_e32 v167, 0xbf2c7751, v86
	v_add_f32_e32 v97, v99, v97
	v_mul_f32_e32 v99, 0x3f06c442, v84
	v_add_f32_e32 v5, v7, v5
	v_add_f32_e32 v7, v8, v0
	v_fma_f32 v168, v54, s7, -v167
	v_fma_f32 v84, v52, s16, -v99
	v_mul_f32_e32 v86, 0x3f763a35, v86
	v_add_f32_e32 v7, v10, v7
	v_add_f32_e32 v122, v168, v122
	v_mul_f32_e32 v168, 0xbe3c28d5, v88
	v_add_f32_e32 v84, v84, v97
	v_fma_f32 v97, v54, s10, -v86
	v_mul_f32_e32 v88, 0x3f65296c, v88
	v_add_f32_e32 v7, v12, v7
	v_fmac_f32_e32 v45, 0xbf7ee86f, v91
	v_mul_f32_e32 v170, 0x3f65296c, v91
	v_fmac_f32_e32 v153, 0xbf4c4adb, v91
	v_fmac_f32_e32 v139, 0x3f2c7751, v91
	v_add_f32_e32 v84, v97, v84
	v_fma_f32 v97, v56, s8, -v88
	v_mul_f32_e32 v91, 0x3eb8f4ab, v91
	v_add_f32_e32 v7, v14, v7
	v_add_f32_e32 v84, v97, v84
	v_mov_b32_e32 v97, v91
	v_add_f32_e32 v7, v16, v7
	v_mul_f32_e32 v171, 0x3f65296c, v90
	v_fmac_f32_e32 v97, 0x3f6eb680, v62
	v_mul_f32_e32 v90, 0x3eb8f4ab, v90
	v_add_f32_e32 v7, v18, v7
	v_add_f32_e32 v85, v97, v85
	v_fma_f32 v97, v58, s6, -v90
	v_add_f32_e32 v7, v20, v7
	v_add_f32_e32 v84, v97, v84
	v_mul_f32_e32 v97, 0x3f6eb680, v48
	v_add_f32_e32 v7, v22, v7
	v_add_f32_e32 v67, v67, v97
	v_mul_f32_e32 v97, 0x3f3d2fb0, v51
	v_add_f32_e32 v7, v24, v7
	v_add_f32_e32 v69, v69, v97
	;; [unrolled: 1-line block ×5, first 2 shown]
	v_mul_f32_e32 v69, 0x3ee437d1, v53
	v_add_f32_e32 v4, v4, v7
	v_add_f32_e32 v69, v71, v69
	v_mul_f32_e32 v71, 0x3f6eb680, v46
	v_add_f32_e32 v4, v6, v4
	v_fma_f32 v6, v48, s11, -v155
	v_sub_f32_e32 v63, v71, v63
	v_mul_f32_e32 v71, 0x3f3d2fb0, v47
	v_add_f32_e32 v6, v6, v1
	v_fma_f32 v7, v51, s10, -v156
	v_sub_f32_e32 v64, v71, v64
	v_add_f32_e32 v63, v63, v0
	v_add_f32_e32 v6, v7, v6
	v_fma_f32 v7, v53, s6, -v157
	v_add_f32_e32 v63, v64, v63
	v_mul_f32_e32 v64, 0x3ee437d1, v49
	v_add_f32_e32 v6, v7, v6
	v_fma_f32 v7, v55, s16, -v158
	v_add_f32_e32 v67, v69, v67
	v_mul_f32_e32 v69, 0x3dbcf732, v55
	v_sub_f32_e32 v64, v64, v65
	v_add_f32_e32 v6, v7, v6
	v_fma_f32 v7, v57, s9, -v159
	v_add_f32_e32 v69, v74, v69
	v_add_f32_e32 v63, v64, v63
	v_mul_f32_e32 v64, 0x3dbcf732, v50
	v_add_f32_e32 v6, v7, v6
	v_fma_f32 v7, v59, s7, -v160
	v_fma_f32 v8, v48, s7, -v82
	v_add_f32_e32 v123, v123, v1
	v_add_f32_e32 v125, v125, v1
	v_add_f32_e32 v67, v69, v67
	v_mul_f32_e32 v69, 0xbe8c1d8e, v57
	v_sub_f32_e32 v64, v64, v66
	v_add_f32_e32 v6, v7, v6
	v_fma_f32 v7, v61, s17, -v161
	v_add_f32_e32 v1, v8, v1
	v_fma_f32 v8, v51, s9, -v98
	v_add_f32_e32 v123, v124, v123
	v_fma_f32 v124, v46, s10, -v146
	v_add_f32_e32 v125, v126, v125
	v_fma_f32 v126, v46, s9, -v132
	v_add_f32_e32 v69, v77, v69
	v_add_f32_e32 v63, v64, v63
	v_mul_f32_e32 v64, 0xbe8c1d8e, v52
	v_add_f32_e32 v6, v7, v6
	v_fma_f32 v7, v62, s8, -v170
	v_fmac_f32_e32 v162, 0xbf1a4643, v46
	v_add_f32_e32 v1, v8, v1
	v_fma_f32 v8, v53, s11, -v87
	v_fmac_f32_e32 v73, 0x3f3d2fb0, v46
	v_add_f32_e32 v123, v141, v123
	v_add_f32_e32 v124, v124, v0
	v_fma_f32 v141, v47, s16, -v147
	v_add_f32_e32 v125, v127, v125
	v_add_f32_e32 v126, v126, v0
	v_fma_f32 v127, v47, s17, -v133
	v_add_f32_e32 v67, v69, v67
	v_mul_f32_e32 v69, 0xbf1a4643, v59
	v_sub_f32_e32 v64, v64, v68
	v_add_f32_e32 v7, v7, v6
	v_add_f32_e32 v6, v162, v0
	v_fmac_f32_e32 v163, 0xbe8c1d8e, v47
	v_add_f32_e32 v1, v8, v1
	v_fma_f32 v8, v55, s17, -v89
	v_add_f32_e32 v0, v73, v0
	v_fmac_f32_e32 v76, 0x3dbcf732, v47
	v_add_f32_e32 v124, v141, v124
	v_fma_f32 v141, v49, s7, -v148
	v_add_f32_e32 v126, v127, v126
	v_fma_f32 v127, v49, s10, -v134
	v_add_f32_e32 v69, v79, v69
	v_add_f32_e32 v63, v64, v63
	v_mul_f32_e32 v64, 0xbf1a4643, v54
	v_add_f32_e32 v6, v163, v6
	v_fmac_f32_e32 v164, 0x3f6eb680, v49
	v_add_f32_e32 v1, v8, v1
	v_fma_f32 v8, v57, s16, -v92
	v_add_f32_e32 v0, v76, v0
	v_fmac_f32_e32 v78, 0xbf1a4643, v49
	v_add_f32_e32 v123, v142, v123
	v_add_f32_e32 v124, v141, v124
	v_fma_f32 v141, v50, s8, -v149
	v_add_f32_e32 v125, v128, v125
	v_add_f32_e32 v126, v127, v126
	v_fma_f32 v127, v50, s6, -v135
	v_add_f32_e32 v67, v69, v67
	v_mul_f32_e32 v69, 0xbf59a7d5, v61
	v_sub_f32_e32 v64, v64, v70
	v_add_f32_e32 v6, v164, v6
	v_fmac_f32_e32 v165, 0xbf59a7d5, v50
	v_add_f32_e32 v1, v8, v1
	v_fma_f32 v8, v59, s10, -v93
	v_add_f32_e32 v0, v78, v0
	v_fmac_f32_e32 v80, 0xbf7ba420, v50
	v_fma_f32 v169, v56, s17, -v168
	v_add_f32_e32 v123, v143, v123
	v_add_f32_e32 v124, v141, v124
	v_fma_f32 v141, v52, s17, -v150
	v_add_f32_e32 v125, v129, v125
	v_add_f32_e32 v126, v127, v126
	;; [unrolled: 3-line block ×3, first 2 shown]
	v_mul_f32_e32 v64, 0xbf59a7d5, v56
	v_add_f32_e32 v5, v29, v5
	v_add_f32_e32 v4, v28, v4
	;; [unrolled: 1-line block ×3, first 2 shown]
	v_fmac_f32_e32 v166, 0x3dbcf732, v52
	v_add_f32_e32 v1, v8, v1
	v_fma_f32 v8, v61, s8, -v94
	v_add_f32_e32 v0, v80, v0
	v_fmac_f32_e32 v99, 0xbf59a7d5, v52
	v_add_f32_e32 v169, v169, v122
	v_mov_b32_e32 v122, v170
	v_add_f32_e32 v123, v144, v123
	v_add_f32_e32 v124, v141, v124
	v_fma_f32 v141, v54, s9, -v151
	v_add_f32_e32 v125, v130, v125
	v_add_f32_e32 v126, v127, v126
	v_fma_f32 v127, v54, s16, -v137
	v_add_f32_e32 v67, v69, v67
	v_mul_f32_e32 v69, 0xbf7ba420, v62
	v_sub_f32_e32 v64, v64, v72
	v_mul_f32_e32 v65, 0xbf7ba420, v58
	v_add_f32_e32 v5, v31, v5
	v_add_f32_e32 v4, v30, v4
	v_add_f32_e32 v6, v166, v6
	v_fmac_f32_e32 v167, 0x3f3d2fb0, v54
	v_add_f32_e32 v1, v8, v1
	v_fma_f32 v8, v62, s6, -v91
	v_add_f32_e32 v0, v99, v0
	v_fmac_f32_e32 v86, 0xbe8c1d8e, v54
	v_add_f32_e32 v45, v45, v44
	v_mov_b32_e32 v44, v181
	v_fmac_f32_e32 v122, 0x3ee437d1, v62
	v_add_f32_e32 v123, v145, v123
	v_add_f32_e32 v124, v141, v124
	v_fma_f32 v141, v56, s6, -v152
	v_add_f32_e32 v125, v131, v125
	v_add_f32_e32 v126, v127, v126
	v_fma_f32 v127, v56, s11, -v138
	v_add_f32_e32 v69, v83, v69
	v_add_f32_e32 v63, v64, v63
	v_sub_f32_e32 v65, v65, v75
	v_add_f32_e32 v5, v33, v5
	v_add_f32_e32 v4, v32, v4
	;; [unrolled: 1-line block ×3, first 2 shown]
	v_fmac_f32_e32 v168, 0xbf7ba420, v56
	v_add_f32_e32 v1, v8, v1
	v_add_f32_e32 v0, v86, v0
	v_fmac_f32_e32 v88, 0x3ee437d1, v56
	v_mul_lo_u16_e32 v8, 17, v113
	v_fmac_f32_e32 v44, 0x3dbcf732, v58
	v_add_f32_e32 v122, v122, v121
	v_fma_f32 v121, v58, s8, -v171
	v_add_f32_e32 v141, v141, v124
	v_add_f32_e32 v124, v153, v123
	v_fma_f32 v123, v58, s11, -v154
	v_add_f32_e32 v127, v127, v126
	;; [unrolled: 3-line block ×3, first 2 shown]
	v_add_f32_e32 v63, v65, v63
	v_add_f32_e32 v5, v35, v5
	;; [unrolled: 1-line block ×4, first 2 shown]
	v_fmac_f32_e32 v171, 0x3ee437d1, v58
	v_add_f32_e32 v0, v88, v0
	v_fmac_f32_e32 v90, 0x3f6eb680, v58
	v_add_lshl_u32 v8, v116, v8, 3
	v_add_f32_e32 v44, v44, v179
	v_add_f32_e32 v121, v121, v169
	;; [unrolled: 1-line block ×6, first 2 shown]
	ds_write2_b64 v8, v[4:5], v[63:64] offset1:1
	ds_write2_b64 v8, v[84:85], v[95:96] offset0:2 offset1:3
	ds_write2_b64 v8, v[125:126], v[123:124] offset0:4 offset1:5
	ds_write2_b64 v8, v[121:122], v[119:120] offset0:6 offset1:7
	ds_write2_b64 v8, v[111:112], v[44:45] offset0:8 offset1:9
	ds_write2_b64 v8, v[42:43], v[6:7] offset0:10 offset1:11
	ds_write2_b64 v8, v[40:41], v[38:39] offset0:12 offset1:13
	ds_write2_b64 v8, v[36:37], v[0:1] offset0:14 offset1:15
	ds_write_b64 v8, v[2:3] offset:128
.LBB0_7:
	s_or_b64 exec, exec, s[4:5]
	s_movk_i32 s8, 0xf1
	v_mul_lo_u16_sdwa v0, v113, s8 dst_sel:DWORD dst_unused:UNUSED_PAD src0_sel:BYTE_0 src1_sel:DWORD
	v_lshrrev_b16_e32 v54, 12, v0
	v_add_u16_e32 v4, 0x44, v113
	v_mul_lo_u16_e32 v0, 17, v54
	v_mul_lo_u16_sdwa v5, v4, s8 dst_sel:DWORD dst_unused:UNUSED_PAD src0_sel:BYTE_0 src1_sel:DWORD
	v_sub_u16_e32 v0, v113, v0
	v_lshrrev_b16_e32 v56, 12, v5
	v_and_b32_e32 v55, 0xff, v0
	v_mul_lo_u16_e32 v5, 17, v56
	s_load_dwordx4 s[4:7], s[0:1], 0x0
	v_mad_u64_u32 v[0:1], s[0:1], v55, 24, s[2:3]
	v_sub_u16_e32 v4, v4, v5
	v_and_b32_e32 v57, 0xff, v4
	v_mad_u64_u32 v[16:17], s[0:1], v57, 24, s[2:3]
	v_add_u16_e32 v58, 0x88, v113
	s_waitcnt lgkmcnt(0)
	s_barrier
	global_load_dwordx2 v[61:62], v[0:1], off offset:16
	global_load_dwordx4 v[12:15], v[0:1], off
	global_load_dwordx4 v[4:7], v[16:17], off
	v_mul_lo_u16_sdwa v0, v58, s8 dst_sel:DWORD dst_unused:UNUSED_PAD src0_sel:BYTE_0 src1_sel:DWORD
	v_lshrrev_b16_e32 v59, 12, v0
	v_mul_lo_u16_e32 v0, 17, v59
	v_sub_u16_e32 v0, v58, v0
	v_and_b32_e32 v69, 0xff, v0
	v_mad_u64_u32 v[0:1], s[0:1], v69, 24, s[2:3]
	v_add_u32_e32 v73, 0xcc, v113
	s_mov_b32 s0, 0xf0f1
	v_mul_u32_u24_sdwa v74, v73, s0 dst_sel:DWORD dst_unused:UNUSED_PAD src0_sel:WORD_0 src1_sel:DWORD
	v_lshrrev_b32_e32 v70, 20, v74
	global_load_dwordx2 v[65:66], v[16:17], off offset:16
	global_load_dwordx4 v[8:11], v[0:1], off
	global_load_dwordx2 v[63:64], v[0:1], off offset:16
	v_mul_lo_u16_e32 v0, 17, v70
	v_sub_u16_e32 v71, v73, v0
	v_mul_lo_u16_e32 v0, 24, v71
	v_mov_b32_e32 v33, s3
	v_add_co_u32_e64 v0, s[0:1], s2, v0
	v_addc_co_u32_e64 v1, s[0:1], 0, v33, s[0:1]
	global_load_dwordx4 v[16:19], v[0:1], off
	global_load_dwordx2 v[67:68], v[0:1], off offset:16
	v_add_lshl_u32 v119, v116, v113, 3
	ds_read2_b64 v[20:23], v119 offset1:68
	v_add_u32_e32 v0, 0x800, v119
	v_add_u32_e32 v32, 0x1000, v119
	;; [unrolled: 1-line block ×3, first 2 shown]
	ds_read2_b64 v[24:27], v119 offset0:136 offset1:204
	ds_read2_b64 v[28:31], v0 offset0:16 offset1:84
	;; [unrolled: 1-line block ×7, first 2 shown]
	v_mul_u32_u24_e32 v54, 0x44, v54
	v_add_u32_e32 v54, v54, v55
	v_add_lshl_u32 v121, v116, v54, 3
	s_waitcnt vmcnt(0) lgkmcnt(0)
	s_barrier
	s_movk_i32 s0, 0x44
	v_lshlrev_b32_e32 v120, 3, v113
	v_lshl_add_u32 v127, v113, 3, v118
	v_mul_f32_e32 v78, v39, v62
	v_mul_f32_e32 v75, v28, v13
	;; [unrolled: 1-line block ×8, first 2 shown]
	v_fmac_f32_e32 v75, v29, v12
	v_fma_f32 v29, v34, v14, -v76
	v_fma_f32 v34, v38, v61, -v78
	;; [unrolled: 1-line block ×4, first 2 shown]
	v_mul_f32_e32 v87, v42, v9
	v_mul_f32_e32 v88, v47, v11
	v_mul_f32_e32 v30, v51, v64
	v_mul_f32_e32 v86, v43, v9
	v_mul_f32_e32 v89, v46, v11
	v_fmac_f32_e32 v87, v43, v8
	v_fma_f32 v43, v46, v10, -v88
	v_fma_f32 v46, v50, v63, -v30
	v_fmac_f32_e32 v77, v35, v14
	v_mul_f32_e32 v30, v45, v17
	v_fmac_f32_e32 v79, v39, v61
	v_fmac_f32_e32 v89, v47, v10
	v_mul_f32_e32 v47, v50, v64
	v_fma_f32 v50, v44, v16, -v30
	v_mul_f32_e32 v30, v49, v19
	v_fmac_f32_e32 v81, v31, v4
	v_fma_f32 v72, v48, v18, -v30
	v_mul_f32_e32 v48, v48, v19
	v_mul_f32_e32 v30, v53, v68
	v_sub_f32_e32 v35, v20, v29
	v_sub_f32_e32 v39, v21, v77
	v_sub_f32_e32 v31, v28, v34
	v_sub_f32_e32 v34, v75, v79
	v_mul_f32_e32 v83, v36, v7
	v_mul_f32_e32 v85, v40, v66
	v_fmac_f32_e32 v48, v49, v18
	v_fma_f32 v49, v52, v67, -v30
	v_fma_f32 v29, v20, 2.0, -v35
	v_fma_f32 v30, v21, 2.0, -v39
	v_fma_f32 v20, v28, 2.0, -v31
	v_fma_f32 v21, v75, 2.0, -v34
	v_mul_f32_e32 v82, v37, v7
	v_mul_f32_e32 v84, v41, v66
	v_fmac_f32_e32 v83, v37, v6
	v_fmac_f32_e32 v85, v41, v65
	;; [unrolled: 1-line block ×3, first 2 shown]
	v_mul_f32_e32 v51, v44, v17
	v_sub_f32_e32 v20, v29, v20
	v_sub_f32_e32 v21, v30, v21
	v_fma_f32 v36, v36, v6, -v82
	v_fma_f32 v37, v40, v65, -v84
	v_fmac_f32_e32 v51, v45, v16
	v_fma_f32 v28, v29, 2.0, -v20
	v_fma_f32 v29, v30, 2.0, -v21
	v_sub_f32_e32 v30, v35, v34
	v_add_f32_e32 v31, v39, v31
	v_sub_f32_e32 v41, v23, v83
	v_sub_f32_e32 v45, v81, v85
	v_fma_f32 v42, v42, v8, -v86
	v_mul_f32_e32 v52, v52, v68
	v_fma_f32 v34, v35, 2.0, -v30
	v_fma_f32 v35, v39, 2.0, -v31
	v_sub_f32_e32 v40, v22, v36
	v_fma_f32 v39, v23, 2.0, -v41
	v_sub_f32_e32 v44, v38, v37
	v_fma_f32 v23, v81, 2.0, -v45
	v_fmac_f32_e32 v52, v53, v67
	v_fma_f32 v36, v22, 2.0, -v40
	v_fma_f32 v22, v38, 2.0, -v44
	v_sub_f32_e32 v23, v39, v23
	v_sub_f32_e32 v38, v40, v45
	;; [unrolled: 1-line block ×6, first 2 shown]
	ds_write2_b64 v121, v[28:29], v[34:35] offset1:17
	ds_write2_b64 v121, v[20:21], v[30:31] offset0:34 offset1:51
	v_mul_u32_u24_e32 v20, 0x44, v56
	v_fma_f32 v37, v39, 2.0, -v23
	v_add_f32_e32 v39, v41, v44
	v_fma_f32 v43, v24, 2.0, -v53
	v_fma_f32 v44, v25, 2.0, -v75
	;; [unrolled: 1-line block ×4, first 2 shown]
	v_add_u32_e32 v20, v20, v57
	v_sub_f32_e32 v24, v43, v24
	v_sub_f32_e32 v25, v44, v25
	v_add_lshl_u32 v122, v116, v20, 3
	v_mul_u32_u24_e32 v20, 0x44, v59
	v_sub_f32_e32 v22, v36, v22
	v_fma_f32 v42, v43, 2.0, -v24
	v_fma_f32 v43, v44, 2.0, -v25
	v_sub_f32_e32 v44, v53, v46
	v_add_f32_e32 v45, v75, v45
	v_add_u32_e32 v20, v20, v69
	v_fma_f32 v36, v36, 2.0, -v22
	v_fma_f32 v40, v40, 2.0, -v38
	v_fma_f32 v41, v41, 2.0, -v39
	v_fma_f32 v46, v53, 2.0, -v44
	v_fma_f32 v47, v75, 2.0, -v45
	v_add_lshl_u32 v123, v116, v20, 3
	v_sub_f32_e32 v53, v26, v72
	v_sub_f32_e32 v72, v27, v48
	;; [unrolled: 1-line block ×4, first 2 shown]
	ds_write2_b64 v122, v[36:37], v[40:41] offset1:17
	ds_write2_b64 v122, v[22:23], v[38:39] offset0:34 offset1:51
	ds_write2_b64 v123, v[42:43], v[46:47] offset1:17
	ds_write2_b64 v123, v[24:25], v[44:45] offset0:34 offset1:51
	v_mad_legacy_u16 v20, v70, s0, v71
	v_mad_u64_u32 v[24:25], s[0:1], v113, 24, s[2:3]
	v_fma_f32 v48, v26, 2.0, -v53
	v_fma_f32 v75, v27, 2.0, -v72
	;; [unrolled: 1-line block ×4, first 2 shown]
	v_sub_f32_e32 v26, v48, v26
	v_sub_f32_e32 v27, v75, v27
	;; [unrolled: 1-line block ×3, first 2 shown]
	v_add_f32_e32 v51, v72, v76
	v_fma_f32 v48, v48, 2.0, -v26
	v_fma_f32 v49, v75, 2.0, -v27
	;; [unrolled: 1-line block ×4, first 2 shown]
	v_add_lshl_u32 v124, v116, v20, 3
	s_movk_i32 s0, 0x79
	ds_write2_b64 v124, v[48:49], v[52:53] offset1:17
	ds_write2_b64 v124, v[26:27], v[50:51] offset0:34 offset1:51
	s_waitcnt lgkmcnt(0)
	s_barrier
	global_load_dwordx4 v[20:23], v[24:25], off offset:408
	global_load_dwordx2 v[69:70], v[24:25], off offset:424
	v_mul_lo_u16_sdwa v24, v58, s0 dst_sel:DWORD dst_unused:UNUSED_PAD src0_sel:BYTE_0 src1_sel:DWORD
	v_lshrrev_b16_e32 v24, 13, v24
	v_mul_lo_u16_e32 v24, 0x44, v24
	v_sub_u16_e32 v24, v58, v24
	v_and_b32_e32 v83, 0xff, v24
	v_mad_u64_u32 v[28:29], s[0:1], v83, 24, s[2:3]
	global_load_dwordx4 v[24:27], v[28:29], off offset:408
	global_load_dwordx2 v[71:72], v[28:29], off offset:424
	v_lshrrev_b32_e32 v28, 22, v74
	v_mul_lo_u16_e32 v28, 0x44, v28
	v_sub_u16_e32 v84, v73, v28
	v_mul_lo_u16_e32 v28, 24, v84
	v_add_co_u32_e64 v34, s[0:1], s2, v28
	v_addc_co_u32_e64 v35, s[0:1], 0, v33, s[0:1]
	global_load_dwordx4 v[28:31], v[34:35], off offset:408
	global_load_dwordx2 v[73:74], v[34:35], off offset:424
	ds_read2_b64 v[34:37], v119 offset1:68
	ds_read2_b64 v[38:41], v0 offset0:16 offset1:84
	ds_read2_b64 v[42:45], v32 offset0:32 offset1:100
	;; [unrolled: 1-line block ×7, first 2 shown]
	v_add_lshl_u32 v125, v116, v83, 3
	s_waitcnt vmcnt(0) lgkmcnt(0)
	s_barrier
	v_add_lshl_u32 v126, v116, v84, 3
	v_add_co_u32_e64 v91, s[0:1], s2, v120
	v_addc_co_u32_e64 v92, s[0:1], 0, v33, s[0:1]
	v_mul_f32_e32 v58, v39, v21
	v_fma_f32 v58, v38, v20, -v58
	v_mul_f32_e32 v38, v38, v21
	v_fmac_f32_e32 v38, v39, v20
	v_mul_f32_e32 v39, v43, v23
	v_fma_f32 v39, v42, v22, -v39
	v_mul_f32_e32 v42, v42, v23
	v_fmac_f32_e32 v42, v43, v22
	v_mul_f32_e32 v43, v47, v70
	v_fma_f32 v43, v46, v69, -v43
	v_mul_f32_e32 v46, v46, v70
	v_fmac_f32_e32 v46, v47, v69
	v_mul_f32_e32 v47, v41, v21
	v_fma_f32 v47, v40, v20, -v47
	v_mul_f32_e32 v59, v40, v21
	v_mul_f32_e32 v40, v45, v23
	v_fma_f32 v85, v44, v22, -v40
	v_mul_f32_e32 v44, v44, v23
	v_mul_f32_e32 v40, v49, v70
	v_fmac_f32_e32 v44, v45, v22
	v_fma_f32 v45, v48, v69, -v40
	v_mul_f32_e32 v40, v55, v25
	v_fma_f32 v86, v54, v24, -v40
	v_mul_f32_e32 v54, v54, v25
	v_mul_f32_e32 v40, v76, v27
	v_fmac_f32_e32 v54, v55, v24
	v_fma_f32 v55, v75, v26, -v40
	v_mul_f32_e32 v75, v75, v27
	v_mul_f32_e32 v40, v80, v72
	v_fmac_f32_e32 v75, v76, v26
	v_fma_f32 v76, v79, v71, -v40
	v_mul_f32_e32 v79, v79, v72
	v_mul_f32_e32 v40, v57, v29
	;; [unrolled: 1-line block ×3, first 2 shown]
	v_fmac_f32_e32 v79, v80, v71
	v_fma_f32 v80, v56, v28, -v40
	v_mul_f32_e32 v40, v78, v31
	v_fmac_f32_e32 v59, v41, v20
	v_fmac_f32_e32 v48, v49, v69
	v_mul_f32_e32 v87, v56, v29
	v_fma_f32 v88, v77, v30, -v40
	v_mul_f32_e32 v77, v77, v31
	v_mul_f32_e32 v40, v82, v74
	v_sub_f32_e32 v49, v34, v39
	v_sub_f32_e32 v56, v35, v42
	;; [unrolled: 1-line block ×4, first 2 shown]
	v_fmac_f32_e32 v77, v78, v30
	v_fma_f32 v78, v81, v73, -v40
	v_fma_f32 v39, v34, 2.0, -v49
	v_fma_f32 v40, v35, 2.0, -v56
	;; [unrolled: 1-line block ×4, first 2 shown]
	v_add_f32_e32 v41, v56, v41
	v_sub_f32_e32 v34, v39, v34
	v_sub_f32_e32 v35, v40, v35
	v_fma_f32 v43, v56, 2.0, -v41
	v_sub_f32_e32 v56, v37, v44
	v_sub_f32_e32 v48, v59, v48
	v_fma_f32 v38, v39, 2.0, -v34
	v_fma_f32 v39, v40, 2.0, -v35
	v_sub_f32_e32 v40, v49, v42
	v_fma_f32 v46, v37, 2.0, -v56
	v_fma_f32 v37, v59, 2.0, -v48
	v_fmac_f32_e32 v87, v57, v28
	v_fma_f32 v42, v49, 2.0, -v40
	v_sub_f32_e32 v49, v36, v85
	v_sub_f32_e32 v57, v47, v45
	;; [unrolled: 1-line block ×3, first 2 shown]
	v_mul_f32_e32 v81, v81, v74
	v_fma_f32 v44, v36, 2.0, -v49
	v_fma_f32 v36, v47, 2.0, -v57
	;; [unrolled: 1-line block ×3, first 2 shown]
	v_sub_f32_e32 v46, v49, v48
	v_add_f32_e32 v47, v56, v57
	v_sub_f32_e32 v58, v50, v55
	v_sub_f32_e32 v59, v51, v75
	;; [unrolled: 1-line block ×4, first 2 shown]
	v_fmac_f32_e32 v81, v82, v73
	v_fma_f32 v48, v49, 2.0, -v46
	v_fma_f32 v49, v56, 2.0, -v47
	;; [unrolled: 1-line block ×6, first 2 shown]
	v_sub_f32_e32 v50, v55, v50
	v_sub_f32_e32 v51, v56, v51
	;; [unrolled: 1-line block ×7, first 2 shown]
	v_fma_f32 v54, v55, 2.0, -v50
	v_fma_f32 v55, v56, 2.0, -v51
	v_sub_f32_e32 v56, v58, v75
	v_add_f32_e32 v57, v59, v57
	v_fma_f32 v75, v52, 2.0, -v79
	v_fma_f32 v76, v53, 2.0, -v82
	;; [unrolled: 1-line block ×7, first 2 shown]
	v_sub_f32_e32 v52, v75, v52
	v_sub_f32_e32 v53, v76, v53
	;; [unrolled: 1-line block ×3, first 2 shown]
	v_add_f32_e32 v78, v82, v78
	ds_write2_b64 v119, v[38:39], v[42:43] offset1:68
	ds_write2_b64 v119, v[34:35], v[40:41] offset0:136 offset1:204
	ds_write2_b64 v0, v[44:45], v[48:49] offset0:16 offset1:84
	;; [unrolled: 1-line block ×3, first 2 shown]
	v_add_u32_e32 v34, 0x1000, v125
	v_fma_f32 v75, v75, 2.0, -v52
	v_fma_f32 v76, v76, 2.0, -v53
	;; [unrolled: 1-line block ×4, first 2 shown]
	ds_write2_b64 v34, v[54:55], v[58:59] offset0:32 offset1:100
	ds_write2_b64 v34, v[50:51], v[56:57] offset0:168 offset1:236
	v_add_u32_e32 v34, 0x1800, v126
	ds_write2_b64 v34, v[75:76], v[79:80] offset0:48 offset1:116
	ds_write2_b64 v34, v[52:53], v[77:78] offset0:184 offset1:252
	s_waitcnt lgkmcnt(0)
	s_barrier
	global_load_dwordx2 v[75:76], v120, s[2:3] offset:2040
	global_load_dwordx2 v[77:78], v120, s[2:3] offset:2584
	;; [unrolled: 1-line block ×4, first 2 shown]
	ds_read2_b64 v[34:37], v119 offset1:68
	ds_read2_b64 v[38:41], v32 offset0:32 offset1:100
	ds_read2_b64 v[42:45], v119 offset0:136 offset1:204
	;; [unrolled: 1-line block ×7, first 2 shown]
	s_movk_i32 s3, 0x1000
	s_waitcnt vmcnt(0) lgkmcnt(0)
	s_barrier
	v_mul_f32_e32 v33, v39, v76
	v_fma_f32 v33, v38, v75, -v33
	v_mul_f32_e32 v58, v38, v76
	v_mul_f32_e32 v38, v41, v78
	v_fma_f32 v59, v40, v77, -v38
	v_mul_f32_e32 v38, v47, v80
	v_fma_f32 v94, v46, v79, -v38
	;; [unrolled: 2-line block ×5, first 2 shown]
	v_mul_f32_e32 v38, v88, v80
	v_mul_f32_e32 v93, v40, v78
	v_fma_f32 v102, v87, v79, -v38
	v_mul_f32_e32 v87, v87, v80
	v_mul_f32_e32 v38, v90, v82
	v_fmac_f32_e32 v58, v39, v75
	v_fmac_f32_e32 v93, v41, v77
	v_mul_f32_e32 v95, v46, v80
	v_mul_f32_e32 v97, v48, v82
	;; [unrolled: 1-line block ×4, first 2 shown]
	v_fmac_f32_e32 v87, v88, v79
	v_fma_f32 v88, v89, v81, -v38
	v_mul_f32_e32 v89, v89, v82
	v_fmac_f32_e32 v95, v47, v79
	v_fmac_f32_e32 v97, v49, v81
	;; [unrolled: 1-line block ×5, first 2 shown]
	v_sub_f32_e32 v38, v34, v33
	v_sub_f32_e32 v39, v35, v58
	v_sub_f32_e32 v40, v36, v59
	v_sub_f32_e32 v41, v37, v93
	v_fma_f32 v33, v34, 2.0, -v38
	v_fma_f32 v34, v35, 2.0, -v39
	;; [unrolled: 1-line block ×4, first 2 shown]
	v_sub_f32_e32 v46, v42, v94
	v_sub_f32_e32 v47, v43, v95
	;; [unrolled: 1-line block ×12, first 2 shown]
	v_fma_f32 v42, v42, 2.0, -v46
	v_fma_f32 v43, v43, 2.0, -v47
	;; [unrolled: 1-line block ×12, first 2 shown]
	ds_write2_b64 v119, v[33:34], v[35:36] offset1:68
	ds_write2_b64 v0, v[38:39], v[40:41] offset0:16 offset1:84
	ds_write2_b64 v119, v[42:43], v[44:45] offset0:136 offset1:204
	;; [unrolled: 1-line block ×7, first 2 shown]
	v_add_co_u32_e64 v33, s[0:1], s3, v91
	v_addc_co_u32_e64 v34, s[0:1], 0, v92, s[0:1]
	s_waitcnt lgkmcnt(0)
	s_barrier
	global_load_dwordx2 v[83:84], v[33:34], off offset:120
	global_load_dwordx2 v[85:86], v[33:34], off offset:664
	;; [unrolled: 1-line block ×8, first 2 shown]
	ds_read2_b64 v[36:39], v119 offset1:68
	ds_read2_b64 v[40:43], v32 offset0:32 offset1:100
	ds_read2_b64 v[44:47], v119 offset0:136 offset1:204
	ds_read2_b64 v[32:35], v32 offset0:168 offset1:236
	ds_read2_b64 v[52:55], v0 offset0:16 offset1:84
	ds_read2_b64 v[48:51], v1 offset0:48 offset1:116
	ds_read2_b64 v[101:104], v0 offset0:152 offset1:220
	ds_read2_b64 v[56:59], v1 offset0:184 offset1:252
	s_waitcnt vmcnt(7) lgkmcnt(6)
	v_mul_f32_e32 v0, v41, v84
	v_fma_f32 v0, v40, v83, -v0
	v_mul_f32_e32 v1, v40, v84
	s_waitcnt vmcnt(6)
	v_mul_f32_e32 v40, v43, v86
	v_fmac_f32_e32 v1, v41, v83
	v_fma_f32 v40, v42, v85, -v40
	v_mul_f32_e32 v41, v42, v86
	s_waitcnt vmcnt(5) lgkmcnt(4)
	v_mul_f32_e32 v42, v33, v88
	v_fmac_f32_e32 v41, v43, v85
	v_fma_f32 v42, v32, v87, -v42
	v_mul_f32_e32 v43, v32, v88
	s_waitcnt vmcnt(4)
	v_mul_f32_e32 v32, v35, v90
	v_fma_f32 v105, v34, v89, -v32
	s_waitcnt vmcnt(3) lgkmcnt(2)
	v_mul_f32_e32 v32, v49, v92
	v_fma_f32 v107, v48, v91, -v32
	s_waitcnt vmcnt(2)
	v_mul_f32_e32 v32, v51, v94
	v_fma_f32 v109, v50, v93, -v32
	s_waitcnt vmcnt(1) lgkmcnt(0)
	v_mul_f32_e32 v32, v57, v96
	v_fma_f32 v110, v56, v95, -v32
	s_waitcnt vmcnt(0)
	v_mul_f32_e32 v32, v59, v98
	v_fma_f32 v112, v58, v97, -v32
	v_sub_f32_e32 v32, v36, v0
	v_fmac_f32_e32 v43, v33, v87
	v_mul_f32_e32 v106, v34, v90
	v_mul_f32_e32 v108, v48, v92
	v_sub_f32_e32 v33, v37, v1
	v_fma_f32 v99, v36, 2.0, -v32
	v_sub_f32_e32 v36, v38, v40
	v_sub_f32_e32 v40, v44, v42
	v_fmac_f32_e32 v106, v35, v89
	v_fmac_f32_e32 v108, v49, v91
	v_mul_f32_e32 v50, v50, v94
	v_fma_f32 v100, v37, 2.0, -v33
	v_sub_f32_e32 v37, v39, v41
	v_fma_f32 v34, v38, 2.0, -v36
	v_sub_f32_e32 v41, v45, v43
	;; [unrolled: 2-line block ×3, first 2 shown]
	v_sub_f32_e32 v48, v52, v107
	v_fmac_f32_e32 v50, v51, v93
	v_mul_f32_e32 v111, v56, v96
	v_fma_f32 v35, v39, 2.0, -v37
	v_fma_f32 v39, v45, 2.0, -v41
	v_sub_f32_e32 v45, v47, v106
	v_fma_f32 v42, v46, 2.0, -v44
	v_sub_f32_e32 v49, v53, v108
	;; [unrolled: 2-line block ×3, first 2 shown]
	v_sub_f32_e32 v56, v101, v110
	v_mul_f32_e32 v58, v58, v98
	v_fma_f32 v43, v47, 2.0, -v45
	v_fma_f32 v47, v53, 2.0, -v49
	v_sub_f32_e32 v53, v55, v50
	v_fma_f32 v50, v54, 2.0, -v52
	v_fma_f32 v54, v101, 2.0, -v56
	v_add_u32_e32 v101, 0x1000, v127
	v_fmac_f32_e32 v111, v57, v95
	v_fmac_f32_e32 v58, v59, v97
	v_fma_f32 v51, v55, 2.0, -v53
	ds_write2_b64 v127, v[99:100], v[34:35] offset1:68
	ds_write2_b64 v101, v[32:33], v[36:37] offset0:32 offset1:100
	ds_write2_b64 v127, v[38:39], v[42:43] offset0:136 offset1:204
	;; [unrolled: 1-line block ×3, first 2 shown]
	v_add_u32_e32 v101, 0x800, v127
	v_sub_f32_e32 v57, v102, v111
	v_sub_f32_e32 v0, v103, v112
	;; [unrolled: 1-line block ×3, first 2 shown]
	ds_write2_b64 v101, v[46:47], v[50:51] offset0:16 offset1:84
	v_add_u32_e32 v101, 0x1800, v127
	v_fma_f32 v55, v102, 2.0, -v57
	v_fma_f32 v58, v103, 2.0, -v0
	v_fma_f32 v59, v104, 2.0, -v1
	ds_write2_b64 v101, v[48:49], v[52:53] offset0:48 offset1:116
	ds_write_b64 v127, v[54:55] offset:3264
	v_add_u32_e32 v101, v120, v118
	ds_write_b64 v101, v[56:57] offset:7616
	ds_write_b64 v127, v[58:59] offset:3808
	;; [unrolled: 1-line block ×3, first 2 shown]
	s_waitcnt lgkmcnt(0)
	s_barrier
	s_and_saveexec_b64 s[0:1], vcc
	s_cbranch_execz .LBB0_9
; %bb.8:
	s_add_u32 s2, s12, 0x2200
	s_addc_u32 s3, s13, 0
	v_or_b32_e32 v104, 0x1000, v114
	global_load_dwordx2 v[102:103], v114, s[2:3]
	global_load_dwordx2 v[110:111], v114, s[2:3] offset:512
	global_load_dwordx2 v[144:145], v114, s[2:3] offset:1024
	;; [unrolled: 1-line block ×7, first 2 shown]
	global_load_dwordx2 v[156:157], v104, s[2:3]
	v_or_b32_e32 v106, 0x1e00, v114
	global_load_dwordx2 v[170:171], v106, s[2:3]
	v_or_b32_e32 v104, 0x1200, v114
	v_or_b32_e32 v106, 0x2000, v114
	global_load_dwordx2 v[158:159], v104, s[2:3]
	global_load_dwordx2 v[172:173], v106, s[2:3]
	v_or_b32_e32 v104, 0x1400, v114
	global_load_dwordx2 v[160:161], v104, s[2:3]
	v_or_b32_e32 v104, 0x1600, v114
	;; [unrolled: 2-line block ×5, first 2 shown]
	global_load_dwordx2 v[168:169], v104, s[2:3]
	ds_read_b64 v[104:105], v117
	s_waitcnt vmcnt(16) lgkmcnt(0)
	v_mul_f32_e32 v106, v105, v103
	v_mul_f32_e32 v107, v104, v103
	v_fma_f32 v106, v104, v102, -v106
	v_fmac_f32_e32 v107, v105, v102
	ds_write_b64 v117, v[106:107]
	ds_read2st64_b64 v[102:105], v127 offset0:1 offset1:2
	ds_read2st64_b64 v[106:109], v127 offset0:3 offset1:4
	ds_read2st64_b64 v[128:131], v127 offset0:5 offset1:6
	ds_read2st64_b64 v[132:135], v127 offset0:7 offset1:8
	ds_read2st64_b64 v[136:139], v127 offset0:9 offset1:10
	ds_read2st64_b64 v[140:143], v127 offset0:11 offset1:12
	s_waitcnt vmcnt(15) lgkmcnt(5)
	v_mul_f32_e32 v174, v103, v111
	v_mul_f32_e32 v112, v102, v111
	s_waitcnt vmcnt(14)
	v_mul_f32_e32 v176, v105, v145
	v_mul_f32_e32 v175, v104, v145
	s_waitcnt vmcnt(13) lgkmcnt(4)
	v_mul_f32_e32 v177, v107, v147
	v_mul_f32_e32 v145, v106, v147
	s_waitcnt vmcnt(12)
	v_mul_f32_e32 v178, v109, v149
	v_mul_f32_e32 v147, v108, v149
	;; [unrolled: 6-line block ×4, first 2 shown]
	v_fma_f32 v111, v102, v110, -v174
	v_fmac_f32_e32 v112, v103, v110
	v_fma_f32 v174, v104, v144, -v176
	v_fmac_f32_e32 v175, v105, v144
	;; [unrolled: 2-line block ×8, first 2 shown]
	ds_write2st64_b64 v127, v[111:112], v[174:175] offset0:1 offset1:2
	ds_write2st64_b64 v127, v[144:145], v[146:147] offset0:3 offset1:4
	;; [unrolled: 1-line block ×4, first 2 shown]
	ds_read2st64_b64 v[102:105], v127 offset0:13 offset1:14
	ds_read2st64_b64 v[106:109], v127 offset0:15 offset1:16
	s_waitcnt vmcnt(6) lgkmcnt(7)
	v_mul_f32_e32 v183, v137, v159
	v_mul_f32_e32 v157, v136, v159
	s_waitcnt vmcnt(4)
	v_mul_f32_e32 v184, v139, v161
	s_waitcnt vmcnt(1) lgkmcnt(1)
	v_mul_f32_e32 v110, v103, v167
	v_mul_f32_e32 v111, v102, v167
	v_fma_f32 v110, v102, v166, -v110
	v_fmac_f32_e32 v111, v103, v166
	s_waitcnt vmcnt(0)
	v_mul_f32_e32 v102, v105, v169
	v_mul_f32_e32 v103, v104, v169
	v_fma_f32 v102, v104, v168, -v102
	v_fmac_f32_e32 v103, v105, v168
	v_mul_f32_e32 v159, v138, v161
	v_mul_f32_e32 v185, v141, v163
	;; [unrolled: 1-line block ×5, first 2 shown]
	ds_write2st64_b64 v127, v[110:111], v[102:103] offset0:13 offset1:14
	s_waitcnt lgkmcnt(1)
	v_mul_f32_e32 v102, v107, v171
	v_mul_f32_e32 v103, v106, v171
	;; [unrolled: 1-line block ×4, first 2 shown]
	v_fma_f32 v156, v136, v158, -v183
	v_fmac_f32_e32 v157, v137, v158
	v_fma_f32 v158, v138, v160, -v184
	v_fmac_f32_e32 v159, v139, v160
	;; [unrolled: 2-line block ×6, first 2 shown]
	ds_write2st64_b64 v127, v[156:157], v[158:159] offset0:9 offset1:10
	ds_write2st64_b64 v127, v[160:161], v[162:163] offset0:11 offset1:12
	;; [unrolled: 1-line block ×3, first 2 shown]
.LBB0_9:
	s_or_b64 exec, exec, s[0:1]
	s_waitcnt lgkmcnt(0)
	s_barrier
	s_and_saveexec_b64 s[0:1], vcc
	s_cbranch_execz .LBB0_11
; %bb.10:
	ds_read_b64 v[99:100], v117
	ds_read2st64_b64 v[32:35], v127 offset0:1 offset1:2
	ds_read2st64_b64 v[36:39], v127 offset0:3 offset1:4
	;; [unrolled: 1-line block ×8, first 2 shown]
.LBB0_11:
	s_or_b64 exec, exec, s[0:1]
	v_add_u32_e32 v129, 0xcc0, v101
	v_add_u32_e32 v128, 0xee0, v101
	s_waitcnt lgkmcnt(0)
	s_barrier
	s_and_saveexec_b64 s[0:1], vcc
	s_cbranch_execz .LBB0_13
; %bb.12:
	v_sub_f32_e32 v130, v32, v2
	v_mul_f32_e32 v162, 0xbf65296c, v130
	v_sub_f32_e32 v131, v34, v0
	v_add_f32_e32 v146, v3, v33
	v_mov_b32_e32 v101, v162
	v_mul_f32_e32 v163, 0xbf4c4adb, v131
	v_fmac_f32_e32 v101, 0x3ee437d1, v146
	v_add_f32_e32 v147, v1, v35
	v_mov_b32_e32 v102, v163
	v_sub_f32_e32 v132, v36, v58
	v_add_f32_e32 v101, v100, v101
	v_fmac_f32_e32 v102, 0xbf1a4643, v147
	v_mul_f32_e32 v164, 0x3e3c28d5, v132
	v_add_f32_e32 v101, v102, v101
	v_add_f32_e32 v148, v59, v37
	v_mov_b32_e32 v102, v164
	v_sub_f32_e32 v133, v38, v56
	v_fmac_f32_e32 v102, 0xbf7ba420, v148
	v_mul_f32_e32 v165, 0x3f763a35, v133
	v_add_f32_e32 v101, v102, v101
	v_add_f32_e32 v149, v57, v39
	v_mov_b32_e32 v102, v165
	v_sub_f32_e32 v134, v40, v54
	;; [unrolled: 6-line block ×6, first 2 shown]
	s_mov_b32 s2, 0x3ee437d1
	v_fmac_f32_e32 v102, 0xbf59a7d5, v153
	v_add_f32_e32 v138, v2, v32
	v_mul_f32_e32 v178, 0xbf65296c, v154
	v_sub_f32_e32 v155, v35, v1
	s_mov_b32 s3, 0xbf1a4643
	v_add_f32_e32 v102, v102, v101
	v_fma_f32 v101, v138, s2, -v178
	v_add_f32_e32 v139, v0, v34
	v_mul_f32_e32 v179, 0xbf4c4adb, v155
	v_sub_f32_e32 v156, v37, v59
	s_mov_b32 s8, 0xbf7ba420
	v_add_f32_e32 v101, v99, v101
	v_fma_f32 v103, v139, s3, -v179
	;; [unrolled: 6-line block ×7, first 2 shown]
	v_add_f32_e32 v145, v48, v46
	v_mul_f32_e32 v185, 0xbf06c442, v161
	v_add_f32_e32 v101, v103, v101
	v_fma_f32 v103, v145, s17, -v185
	v_mul_f32_e32 v175, 0xbf7ee86f, v130
	v_add_f32_e32 v101, v103, v101
	v_mov_b32_e32 v103, v175
	v_mul_f32_e32 v176, 0xbe3c28d5, v131
	v_fmac_f32_e32 v103, 0x3dbcf732, v146
	v_mov_b32_e32 v104, v176
	v_add_f32_e32 v103, v100, v103
	v_fmac_f32_e32 v104, 0xbf7ba420, v147
	v_mul_f32_e32 v186, 0x3f763a35, v132
	v_add_f32_e32 v103, v104, v103
	v_mov_b32_e32 v104, v186
	v_fmac_f32_e32 v104, 0xbe8c1d8e, v148
	v_mul_f32_e32 v187, 0x3eb8f4ab, v133
	v_add_f32_e32 v103, v104, v103
	v_mov_b32_e32 v104, v187
	;; [unrolled: 4-line block ×6, first 2 shown]
	v_fmac_f32_e32 v104, 0x3f3d2fb0, v153
	v_mul_f32_e32 v192, 0xbf7ee86f, v154
	v_add_f32_e32 v104, v104, v103
	v_fma_f32 v103, v138, s16, -v192
	v_mul_f32_e32 v193, 0xbe3c28d5, v155
	v_add_f32_e32 v103, v99, v103
	v_fma_f32 v105, v139, s8, -v193
	v_mul_f32_e32 v194, 0x3f763a35, v156
	v_add_f32_e32 v103, v105, v103
	v_fma_f32 v105, v140, s9, -v194
	v_mul_f32_e32 v195, 0x3eb8f4ab, v157
	v_add_f32_e32 v103, v105, v103
	v_fma_f32 v105, v141, s11, -v195
	v_mul_f32_e32 v196, 0xbf65296c, v158
	v_add_f32_e32 v103, v105, v103
	v_fma_f32 v105, v142, s2, -v196
	v_mul_f32_e32 v197, 0xbf06c442, v159
	v_add_f32_e32 v103, v105, v103
	v_fma_f32 v105, v143, s17, -v197
	v_mul_f32_e32 v198, 0x3f4c4adb, v160
	v_add_f32_e32 v103, v105, v103
	v_fma_f32 v105, v144, s3, -v198
	v_mul_f32_e32 v199, 0x3f2c7751, v161
	v_add_f32_e32 v103, v105, v103
	v_fma_f32 v105, v145, s10, -v199
	v_mul_f32_e32 v173, 0xbf763a35, v130
	v_add_f32_e32 v103, v105, v103
	v_mov_b32_e32 v105, v173
	v_mul_f32_e32 v174, 0x3f06c442, v131
	v_fmac_f32_e32 v105, 0xbe8c1d8e, v146
	v_mov_b32_e32 v106, v174
	v_add_f32_e32 v105, v100, v105
	v_fmac_f32_e32 v106, 0xbf59a7d5, v147
	v_mul_f32_e32 v200, 0x3f2c7751, v132
	v_add_f32_e32 v105, v106, v105
	v_mov_b32_e32 v106, v200
	v_fmac_f32_e32 v106, 0x3f3d2fb0, v148
	v_mul_f32_e32 v201, 0xbf65296c, v133
	v_add_f32_e32 v105, v106, v105
	v_mov_b32_e32 v106, v201
	;; [unrolled: 4-line block ×6, first 2 shown]
	v_fmac_f32_e32 v106, 0xbf1a4643, v153
	v_mul_f32_e32 v206, 0xbf763a35, v154
	v_add_f32_e32 v106, v106, v105
	v_fma_f32 v105, v138, s9, -v206
	v_mul_f32_e32 v207, 0x3f06c442, v155
	v_add_f32_e32 v105, v99, v105
	v_fma_f32 v107, v139, s17, -v207
	;; [unrolled: 3-line block ×8, first 2 shown]
	v_mul_f32_e32 v169, 0xbf06c442, v130
	v_add_f32_e32 v105, v107, v105
	v_mov_b32_e32 v107, v169
	v_mul_f32_e32 v170, 0x3f65296c, v131
	v_add_f32_e32 v33, v33, v100
	v_fmac_f32_e32 v107, 0xbf59a7d5, v146
	v_mov_b32_e32 v108, v170
	v_add_f32_e32 v33, v35, v33
	v_add_f32_e32 v107, v100, v107
	v_fmac_f32_e32 v108, 0x3ee437d1, v147
	v_mul_f32_e32 v171, 0xbf7ee86f, v132
	v_add_f32_e32 v33, v37, v33
	v_add_f32_e32 v107, v108, v107
	v_mov_b32_e32 v108, v171
	v_add_f32_e32 v33, v39, v33
	v_fmac_f32_e32 v108, 0x3dbcf732, v148
	v_mul_f32_e32 v172, 0x3f4c4adb, v133
	v_fma_f32 v162, v146, s2, -v162
	v_add_f32_e32 v33, v41, v33
	v_add_f32_e32 v107, v108, v107
	v_mov_b32_e32 v108, v172
	v_fma_f32 v169, v146, s17, -v169
	v_add_f32_e32 v162, v100, v162
	v_fma_f32 v163, v147, s3, -v163
	v_add_f32_e32 v33, v43, v33
	v_fmac_f32_e32 v108, 0xbf1a4643, v149
	v_mul_f32_e32 v214, 0xbeb8f4ab, v134
	v_add_f32_e32 v169, v100, v169
	v_fma_f32 v170, v147, s2, -v170
	v_add_f32_e32 v162, v163, v162
	v_fma_f32 v163, v148, s8, -v164
	v_add_f32_e32 v33, v45, v33
	v_add_f32_e32 v107, v108, v107
	v_mov_b32_e32 v108, v214
	v_add_f32_e32 v169, v170, v169
	v_fma_f32 v170, v148, s16, -v171
	v_add_f32_e32 v162, v163, v162
	v_fma_f32 v163, v149, s9, -v165
	v_add_f32_e32 v33, v47, v33
	v_fmac_f32_e32 v108, 0x3f6eb680, v150
	v_mul_f32_e32 v215, 0xbe3c28d5, v135
	v_add_f32_e32 v169, v170, v169
	v_fma_f32 v170, v149, s3, -v172
	v_add_f32_e32 v162, v163, v162
	v_fma_f32 v163, v150, s10, -v166
	v_mul_f32_e32 v166, 0x3f3d2fb0, v146
	v_add_f32_e32 v33, v49, v33
	v_add_f32_e32 v107, v108, v107
	v_mov_b32_e32 v108, v215
	v_add_f32_e32 v169, v170, v169
	v_fma_f32 v170, v150, s11, -v214
	v_mul_f32_e32 v214, 0xbf1a4643, v146
	v_add_f32_e32 v162, v163, v162
	v_fma_f32 v163, v151, s11, -v167
	v_mov_b32_e32 v164, v166
	v_mul_f32_e32 v167, 0x3dbcf732, v147
	v_add_f32_e32 v33, v51, v33
	v_fmac_f32_e32 v108, 0xbf7ba420, v151
	v_mul_f32_e32 v216, 0x3f2c7751, v136
	v_add_f32_e32 v169, v170, v169
	v_fma_f32 v170, v151, s8, -v215
	v_mov_b32_e32 v171, v214
	v_mul_f32_e32 v215, 0xbe8c1d8e, v147
	v_fmac_f32_e32 v164, 0x3f2c7751, v130
	v_mov_b32_e32 v165, v167
	v_add_f32_e32 v33, v53, v33
	v_add_f32_e32 v107, v108, v107
	v_mov_b32_e32 v108, v216
	v_fmac_f32_e32 v171, 0x3f4c4adb, v130
	v_mov_b32_e32 v172, v215
	v_add_f32_e32 v162, v163, v162
	v_fma_f32 v163, v152, s16, -v168
	v_add_f32_e32 v164, v100, v164
	v_fmac_f32_e32 v165, 0x3f7ee86f, v131
	v_mul_f32_e32 v168, 0xbf1a4643, v148
	v_add_f32_e32 v33, v55, v33
	v_fmac_f32_e32 v108, 0x3f3d2fb0, v152
	v_mul_f32_e32 v217, 0xbf763a35, v137
	v_add_f32_e32 v169, v170, v169
	v_fma_f32 v170, v152, s10, -v216
	v_add_f32_e32 v171, v100, v171
	v_fmac_f32_e32 v172, 0xbf763a35, v131
	v_mul_f32_e32 v216, 0x3f6eb680, v148
	v_add_f32_e32 v164, v165, v164
	v_mov_b32_e32 v165, v168
	v_add_f32_e32 v33, v57, v33
	v_add_f32_e32 v107, v108, v107
	v_mov_b32_e32 v108, v217
	v_add_f32_e32 v171, v172, v171
	v_mov_b32_e32 v172, v216
	v_add_f32_e32 v162, v163, v162
	v_fma_f32 v163, v153, s17, -v177
	v_fmac_f32_e32 v165, 0x3f4c4adb, v132
	v_mul_f32_e32 v177, 0xbf7ba420, v149
	v_add_f32_e32 v33, v59, v33
	v_fmac_f32_e32 v108, 0xbe8c1d8e, v153
	v_mul_f32_e32 v218, 0xbf06c442, v154
	v_add_f32_e32 v169, v170, v169
	v_fma_f32 v170, v153, s9, -v217
	v_fmac_f32_e32 v172, 0x3eb8f4ab, v132
	v_mul_f32_e32 v217, 0xbf59a7d5, v149
	v_fmac_f32_e32 v178, 0x3ee437d1, v138
	v_add_f32_e32 v164, v165, v164
	v_mov_b32_e32 v165, v177
	v_add_f32_e32 v1, v1, v33
	v_add_f32_e32 v108, v108, v107
	v_fma_f32 v107, v138, s17, -v218
	v_fmac_f32_e32 v218, 0xbf59a7d5, v138
	v_add_f32_e32 v171, v172, v171
	v_mov_b32_e32 v172, v217
	v_add_f32_e32 v163, v163, v162
	v_add_f32_e32 v162, v99, v178
	v_fmac_f32_e32 v165, 0x3e3c28d5, v133
	v_mul_f32_e32 v178, 0xbf59a7d5, v150
	v_add_f32_e32 v1, v3, v1
	v_add_f32_e32 v3, v32, v99
	v_mul_f32_e32 v219, 0x3f65296c, v155
	v_add_f32_e32 v170, v170, v169
	v_add_f32_e32 v169, v99, v218
	v_fmac_f32_e32 v172, 0x3f06c442, v133
	v_mul_f32_e32 v218, 0x3dbcf732, v150
	v_fmac_f32_e32 v179, 0xbf1a4643, v139
	v_add_f32_e32 v164, v165, v164
	v_mov_b32_e32 v165, v178
	v_add_f32_e32 v3, v34, v3
	v_fma_f32 v109, v139, s2, -v219
	v_fmac_f32_e32 v219, 0x3ee437d1, v139
	v_add_f32_e32 v171, v172, v171
	v_mov_b32_e32 v172, v218
	v_add_f32_e32 v162, v179, v162
	v_fmac_f32_e32 v165, 0xbf06c442, v134
	v_mul_f32_e32 v179, 0xbe8c1d8e, v151
	v_add_f32_e32 v3, v36, v3
	v_add_f32_e32 v107, v99, v107
	v_mul_f32_e32 v220, 0xbf7ee86f, v156
	v_add_f32_e32 v169, v219, v169
	v_fmac_f32_e32 v172, 0xbf7ee86f, v134
	v_mul_f32_e32 v219, 0x3f3d2fb0, v151
	v_fmac_f32_e32 v180, 0xbf7ba420, v140
	v_add_f32_e32 v164, v165, v164
	v_mov_b32_e32 v165, v179
	v_add_f32_e32 v3, v38, v3
	v_add_f32_e32 v107, v109, v107
	v_fma_f32 v109, v140, s16, -v220
	v_fmac_f32_e32 v220, 0x3dbcf732, v140
	v_add_f32_e32 v171, v172, v171
	v_mov_b32_e32 v172, v219
	v_add_f32_e32 v162, v180, v162
	v_fmac_f32_e32 v165, 0xbf763a35, v135
	v_mul_f32_e32 v180, 0x3ee437d1, v152
	v_add_f32_e32 v3, v40, v3
	v_mul_f32_e32 v221, 0x3f4c4adb, v157
	v_add_f32_e32 v169, v220, v169
	v_fmac_f32_e32 v172, 0x3f2c7751, v135
	v_mul_f32_e32 v220, 0xbf7ba420, v152
	v_fmac_f32_e32 v181, 0xbe8c1d8e, v141
	v_add_f32_e32 v164, v165, v164
	v_mov_b32_e32 v165, v180
	v_add_f32_e32 v3, v42, v3
	v_add_f32_e32 v107, v109, v107
	v_fma_f32 v109, v141, s3, -v221
	v_fmac_f32_e32 v221, 0xbf1a4643, v141
	v_add_f32_e32 v171, v172, v171
	v_mov_b32_e32 v172, v220
	v_add_f32_e32 v162, v181, v162
	v_fmac_f32_e32 v165, 0xbf65296c, v136
	v_mul_f32_e32 v181, 0x3f6eb680, v153
	v_add_f32_e32 v3, v44, v3
	v_mul_f32_e32 v222, 0xbeb8f4ab, v158
	v_add_f32_e32 v169, v221, v169
	v_fmac_f32_e32 v172, 0x3e3c28d5, v136
	v_mul_f32_e32 v221, 0x3ee437d1, v153
	v_fmac_f32_e32 v182, 0x3f3d2fb0, v142
	v_add_f32_e32 v164, v165, v164
	v_mov_b32_e32 v165, v181
	v_add_f32_e32 v3, v46, v3
	v_add_f32_e32 v107, v109, v107
	v_fma_f32 v109, v142, s11, -v222
	v_mul_f32_e32 v223, 0xbe3c28d5, v159
	v_fmac_f32_e32 v222, 0x3f6eb680, v142
	v_add_f32_e32 v171, v172, v171
	v_mov_b32_e32 v172, v221
	v_add_f32_e32 v162, v182, v162
	v_fmac_f32_e32 v183, 0x3f6eb680, v143
	v_fmac_f32_e32 v165, 0xbeb8f4ab, v137
	v_mul_f32_e32 v182, 0xbf2c7751, v154
	v_add_f32_e32 v3, v48, v3
	v_add_f32_e32 v107, v109, v107
	v_fma_f32 v109, v143, s8, -v223
	v_mul_f32_e32 v224, 0x3f2c7751, v160
	v_add_f32_e32 v169, v222, v169
	v_fmac_f32_e32 v223, 0xbf7ba420, v143
	v_fmac_f32_e32 v172, 0xbf65296c, v137
	v_mul_f32_e32 v222, 0xbf4c4adb, v154
	v_add_f32_e32 v162, v183, v162
	v_fmac_f32_e32 v184, 0x3dbcf732, v144
	v_add_f32_e32 v165, v165, v164
	v_mov_b32_e32 v164, v182
	v_mul_f32_e32 v183, 0xbf7ee86f, v155
	v_add_f32_e32 v3, v50, v3
	v_add_f32_e32 v107, v109, v107
	v_fma_f32 v109, v144, s10, -v224
	v_add_f32_e32 v169, v223, v169
	v_fmac_f32_e32 v224, 0x3f3d2fb0, v144
	v_add_f32_e32 v172, v172, v171
	v_mov_b32_e32 v171, v222
	v_mul_f32_e32 v223, 0x3f763a35, v155
	v_add_f32_e32 v162, v184, v162
	v_fmac_f32_e32 v164, 0x3f3d2fb0, v138
	v_mov_b32_e32 v184, v183
	v_add_f32_e32 v3, v52, v3
	v_add_f32_e32 v169, v224, v169
	v_fmac_f32_e32 v171, 0xbf1a4643, v138
	v_mov_b32_e32 v224, v223
	v_add_f32_e32 v164, v99, v164
	v_fmac_f32_e32 v184, 0x3dbcf732, v139
	v_add_f32_e32 v3, v54, v3
	v_mul_f32_e32 v225, 0xbf763a35, v161
	v_add_f32_e32 v171, v99, v171
	v_fmac_f32_e32 v224, 0xbe8c1d8e, v139
	v_fmac_f32_e32 v185, 0xbf59a7d5, v145
	v_add_f32_e32 v164, v184, v164
	v_mul_f32_e32 v184, 0xbf4c4adb, v156
	v_add_f32_e32 v3, v56, v3
	v_add_f32_e32 v107, v109, v107
	v_fma_f32 v109, v145, s9, -v225
	v_mul_f32_e32 v111, 0xbe3c28d5, v130
	v_fmac_f32_e32 v225, 0xbe8c1d8e, v145
	v_add_f32_e32 v171, v224, v171
	v_mul_f32_e32 v224, 0xbeb8f4ab, v156
	v_add_f32_e32 v162, v185, v162
	v_mov_b32_e32 v185, v184
	v_add_f32_e32 v3, v58, v3
	v_add_f32_e32 v107, v109, v107
	v_mov_b32_e32 v109, v111
	v_mul_f32_e32 v112, 0x3eb8f4ab, v131
	v_add_f32_e32 v169, v225, v169
	v_mov_b32_e32 v225, v224
	v_fma_f32 v175, v146, s16, -v175
	v_fmac_f32_e32 v185, 0xbf1a4643, v140
	v_add_f32_e32 v0, v0, v3
	v_fmac_f32_e32 v214, 0xbf4c4adb, v130
	v_fmac_f32_e32 v109, 0xbf7ba420, v146
	v_mov_b32_e32 v110, v112
	v_fma_f32 v111, v146, s8, -v111
	v_fmac_f32_e32 v225, 0x3f6eb680, v140
	v_add_f32_e32 v175, v100, v175
	v_fma_f32 v176, v147, s8, -v176
	v_add_f32_e32 v164, v185, v164
	v_mul_f32_e32 v185, 0xbe3c28d5, v157
	v_add_f32_e32 v0, v2, v0
	v_add_f32_e32 v2, v100, v214
	v_fmac_f32_e32 v215, 0x3f763a35, v131
	v_add_f32_e32 v109, v100, v109
	v_fmac_f32_e32 v110, 0x3f6eb680, v147
	v_mul_f32_e32 v226, 0xbf06c442, v132
	v_add_f32_e32 v111, v100, v111
	v_fma_f32 v112, v147, s11, -v112
	v_add_f32_e32 v171, v225, v171
	v_mul_f32_e32 v225, 0xbf06c442, v157
	v_add_f32_e32 v175, v176, v175
	v_fma_f32 v176, v148, s9, -v186
	v_mov_b32_e32 v186, v185
	v_add_f32_e32 v2, v215, v2
	v_fmac_f32_e32 v216, 0xbeb8f4ab, v132
	v_add_f32_e32 v109, v110, v109
	v_mov_b32_e32 v110, v226
	v_add_f32_e32 v111, v112, v111
	v_fma_f32 v112, v148, s17, -v226
	v_mov_b32_e32 v226, v225
	v_fmac_f32_e32 v186, 0xbf7ba420, v141
	v_add_f32_e32 v2, v216, v2
	v_fmac_f32_e32 v217, 0xbf06c442, v133
	v_fmac_f32_e32 v226, 0xbf59a7d5, v141
	v_add_f32_e32 v164, v186, v164
	v_mul_f32_e32 v186, 0x3f06c442, v158
	v_add_f32_e32 v2, v217, v2
	v_fmac_f32_e32 v218, 0x3f7ee86f, v134
	v_fmac_f32_e32 v110, 0xbf59a7d5, v148
	v_mul_f32_e32 v227, 0x3f2c7751, v133
	v_add_f32_e32 v171, v226, v171
	v_mul_f32_e32 v226, 0x3f7ee86f, v158
	v_add_f32_e32 v175, v176, v175
	v_fma_f32 v176, v149, s11, -v187
	v_mov_b32_e32 v187, v186
	v_add_f32_e32 v2, v218, v2
	v_fmac_f32_e32 v219, 0xbf2c7751, v135
	v_add_f32_e32 v109, v110, v109
	v_mov_b32_e32 v110, v227
	v_add_f32_e32 v111, v112, v111
	v_fma_f32 v112, v149, s10, -v227
	v_mov_b32_e32 v227, v226
	v_fmac_f32_e32 v187, 0xbf59a7d5, v142
	v_add_f32_e32 v2, v219, v2
	v_fmac_f32_e32 v220, 0xbe3c28d5, v136
	v_fmac_f32_e32 v227, 0x3dbcf732, v142
	v_add_f32_e32 v164, v187, v164
	v_mul_f32_e32 v187, 0x3f763a35, v159
	v_add_f32_e32 v2, v220, v2
	v_fmac_f32_e32 v221, 0x3f65296c, v137
	v_fmac_f32_e32 v110, 0x3f3d2fb0, v149
	v_mul_f32_e32 v228, 0xbf4c4adb, v134
	v_add_f32_e32 v171, v227, v171
	v_mul_f32_e32 v227, 0xbf2c7751, v159
	v_add_f32_e32 v175, v176, v175
	v_fma_f32 v176, v150, s2, -v188
	v_mov_b32_e32 v188, v187
	v_add_f32_e32 v3, v221, v2
	v_fma_f32 v2, v138, s3, -v222
	v_add_f32_e32 v109, v110, v109
	v_mov_b32_e32 v110, v228
	v_add_f32_e32 v111, v112, v111
	v_fma_f32 v112, v150, s3, -v228
	v_mov_b32_e32 v228, v227
	v_fmac_f32_e32 v188, 0xbe8c1d8e, v143
	v_add_f32_e32 v2, v99, v2
	v_fma_f32 v32, v139, s9, -v223
	v_fmac_f32_e32 v228, 0x3f3d2fb0, v143
	v_add_f32_e32 v164, v188, v164
	v_mul_f32_e32 v188, 0x3f65296c, v160
	v_add_f32_e32 v2, v32, v2
	v_fma_f32 v32, v140, s11, -v224
	v_fmac_f32_e32 v110, 0xbf1a4643, v150
	v_mul_f32_e32 v229, 0x3f65296c, v135
	v_add_f32_e32 v171, v228, v171
	v_mul_f32_e32 v228, 0xbe3c28d5, v160
	v_add_f32_e32 v175, v176, v175
	v_fma_f32 v176, v151, s17, -v189
	v_mov_b32_e32 v189, v188
	v_add_f32_e32 v2, v32, v2
	v_fma_f32 v32, v141, s17, -v225
	v_add_f32_e32 v109, v110, v109
	v_mov_b32_e32 v110, v229
	v_add_f32_e32 v111, v112, v111
	v_fma_f32 v112, v151, s2, -v229
	v_mov_b32_e32 v229, v228
	v_fmac_f32_e32 v189, 0x3ee437d1, v144
	v_add_f32_e32 v2, v32, v2
	v_fma_f32 v32, v142, s16, -v226
	v_fmac_f32_e32 v229, 0xbf7ba420, v144
	v_add_f32_e32 v164, v189, v164
	v_mul_f32_e32 v189, 0x3eb8f4ab, v161
	v_add_f32_e32 v2, v32, v2
	v_fma_f32 v32, v143, s10, -v227
	v_add_f32_e32 v171, v229, v171
	v_mul_f32_e32 v229, 0x3f65296c, v161
	v_add_f32_e32 v175, v176, v175
	v_fma_f32 v176, v152, s3, -v190
	v_mov_b32_e32 v190, v189
	v_add_f32_e32 v2, v32, v2
	v_fma_f32 v32, v144, s8, -v228
	v_fmac_f32_e32 v190, 0x3f6eb680, v145
	v_add_f32_e32 v2, v32, v2
	v_fma_f32 v32, v145, s2, -v229
	v_fmac_f32_e32 v166, 0xbf2c7751, v130
	v_add_f32_e32 v164, v190, v164
	v_mul_f32_e32 v190, 0x3f6eb680, v146
	v_add_f32_e32 v2, v32, v2
	v_add_f32_e32 v32, v100, v166
	v_fmac_f32_e32 v167, 0xbf7ee86f, v131
	v_fma_f32 v173, v146, s9, -v173
	v_add_f32_e32 v175, v176, v175
	v_fma_f32 v176, v153, s10, -v191
	v_mov_b32_e32 v146, v190
	v_mul_f32_e32 v191, 0x3f3d2fb0, v147
	v_add_f32_e32 v32, v167, v32
	v_fmac_f32_e32 v168, 0xbf4c4adb, v132
	v_add_f32_e32 v173, v100, v173
	v_fma_f32 v174, v147, s17, -v174
	v_fmac_f32_e32 v146, 0x3eb8f4ab, v130
	v_mov_b32_e32 v147, v191
	v_add_f32_e32 v32, v168, v32
	v_fmac_f32_e32 v177, 0xbe3c28d5, v133
	v_add_f32_e32 v173, v174, v173
	v_fma_f32 v174, v148, s10, -v200
	v_add_f32_e32 v146, v100, v146
	v_fmac_f32_e32 v147, 0x3f2c7751, v131
	v_mul_f32_e32 v148, 0x3ee437d1, v148
	v_add_f32_e32 v32, v177, v32
	v_fmac_f32_e32 v178, 0x3f06c442, v134
	v_add_f32_e32 v146, v147, v146
	v_mov_b32_e32 v147, v148
	v_add_f32_e32 v32, v178, v32
	v_fmac_f32_e32 v179, 0x3f763a35, v135
	v_add_f32_e32 v173, v174, v173
	v_fma_f32 v174, v149, s2, -v201
	v_fmac_f32_e32 v147, 0x3f65296c, v132
	v_mul_f32_e32 v149, 0x3dbcf732, v149
	v_add_f32_e32 v32, v179, v32
	v_fmac_f32_e32 v180, 0x3f65296c, v136
	v_add_f32_e32 v146, v147, v146
	v_mov_b32_e32 v147, v149
	v_add_f32_e32 v32, v180, v32
	v_fmac_f32_e32 v181, 0x3eb8f4ab, v137
	v_add_f32_e32 v173, v174, v173
	v_fma_f32 v174, v150, s8, -v202
	v_fmac_f32_e32 v147, 0x3f7ee86f, v133
	v_mul_f32_e32 v150, 0xbe8c1d8e, v150
	v_add_f32_e32 v33, v181, v32
	v_fma_f32 v32, v138, s10, -v182
	v_add_f32_e32 v146, v147, v146
	v_mov_b32_e32 v147, v150
	v_add_f32_e32 v32, v99, v32
	v_fma_f32 v34, v139, s16, -v183
	v_fmac_f32_e32 v110, 0x3ee437d1, v151
	v_mul_f32_e32 v230, 0xbf763a35, v136
	v_add_f32_e32 v173, v174, v173
	v_fma_f32 v174, v151, s16, -v203
	v_fmac_f32_e32 v147, 0x3f763a35, v134
	v_mul_f32_e32 v151, 0xbf1a4643, v151
	v_add_f32_e32 v32, v34, v32
	v_fma_f32 v34, v140, s3, -v184
	v_add_f32_e32 v109, v110, v109
	v_mov_b32_e32 v110, v230
	v_add_f32_e32 v146, v147, v146
	v_mov_b32_e32 v147, v151
	v_add_f32_e32 v32, v34, v32
	v_fma_f32 v34, v141, s8, -v185
	v_fmac_f32_e32 v110, 0xbe8c1d8e, v152
	v_mul_f32_e32 v231, 0x3f7ee86f, v137
	v_add_f32_e32 v111, v112, v111
	v_fma_f32 v112, v152, s9, -v230
	v_add_f32_e32 v173, v174, v173
	v_fma_f32 v174, v152, s11, -v204
	v_fmac_f32_e32 v147, 0x3f4c4adb, v135
	v_mul_f32_e32 v152, 0xbf59a7d5, v152
	v_add_f32_e32 v32, v34, v32
	v_fma_f32 v34, v142, s17, -v186
	v_add_f32_e32 v109, v110, v109
	v_mov_b32_e32 v110, v231
	v_add_f32_e32 v146, v147, v146
	v_mov_b32_e32 v147, v152
	v_add_f32_e32 v32, v34, v32
	v_fma_f32 v34, v143, s9, -v187
	v_fmac_f32_e32 v110, 0x3dbcf732, v153
	v_add_f32_e32 v111, v112, v111
	v_fma_f32 v112, v153, s16, -v231
	v_add_f32_e32 v173, v174, v173
	v_fma_f32 v174, v153, s3, -v205
	v_fmac_f32_e32 v147, 0x3f06c442, v136
	v_mul_f32_e32 v153, 0xbf7ba420, v153
	v_add_f32_e32 v32, v34, v32
	v_fma_f32 v34, v144, s2, -v188
	v_add_f32_e32 v146, v147, v146
	v_mov_b32_e32 v147, v153
	v_add_f32_e32 v32, v34, v32
	v_fma_f32 v34, v145, s11, -v189
	v_fmac_f32_e32 v190, 0xbeb8f4ab, v130
	v_mul_f32_e32 v232, 0xbe3c28d5, v154
	v_fmac_f32_e32 v147, 0x3e3c28d5, v137
	v_mul_f32_e32 v154, 0xbeb8f4ab, v154
	v_add_f32_e32 v32, v34, v32
	v_add_f32_e32 v34, v100, v190
	v_fmac_f32_e32 v191, 0xbf2c7751, v131
	v_add_f32_e32 v110, v110, v109
	v_fma_f32 v109, v138, s8, -v232
	v_mul_f32_e32 v233, 0x3eb8f4ab, v155
	v_fmac_f32_e32 v192, 0x3dbcf732, v138
	v_add_f32_e32 v147, v147, v146
	v_mov_b32_e32 v146, v154
	v_mul_f32_e32 v155, 0xbf2c7751, v155
	v_add_f32_e32 v34, v191, v34
	v_fmac_f32_e32 v148, 0xbf65296c, v132
	v_add_f32_e32 v109, v99, v109
	v_fma_f32 v234, v139, s11, -v233
	v_add_f32_e32 v176, v176, v175
	v_add_f32_e32 v175, v99, v192
	v_fmac_f32_e32 v146, 0x3f6eb680, v138
	v_mov_b32_e32 v192, v155
	v_add_f32_e32 v34, v148, v34
	v_fmac_f32_e32 v149, 0xbf7ee86f, v133
	v_add_f32_e32 v109, v234, v109
	v_mul_f32_e32 v234, 0xbf06c442, v156
	v_add_f32_e32 v146, v99, v146
	v_fmac_f32_e32 v192, 0x3f3d2fb0, v139
	v_mul_f32_e32 v156, 0xbf65296c, v156
	v_add_f32_e32 v34, v149, v34
	v_fmac_f32_e32 v150, 0xbf763a35, v134
	v_fma_f32 v235, v140, s17, -v234
	v_add_f32_e32 v146, v192, v146
	v_mov_b32_e32 v192, v156
	v_add_f32_e32 v34, v150, v34
	v_fmac_f32_e32 v151, 0xbf4c4adb, v135
	v_add_f32_e32 v109, v235, v109
	v_mul_f32_e32 v235, 0x3f2c7751, v157
	v_fmac_f32_e32 v192, 0x3ee437d1, v140
	v_mul_f32_e32 v157, 0xbf7ee86f, v157
	v_add_f32_e32 v34, v151, v34
	v_fmac_f32_e32 v152, 0xbf06c442, v136
	v_fma_f32 v236, v141, s10, -v235
	v_add_f32_e32 v146, v192, v146
	v_mov_b32_e32 v192, v157
	v_add_f32_e32 v34, v152, v34
	v_fmac_f32_e32 v153, 0xbe3c28d5, v137
	v_add_f32_e32 v109, v236, v109
	v_mul_f32_e32 v236, 0xbf4c4adb, v158
	v_fmac_f32_e32 v192, 0x3dbcf732, v141
	v_mul_f32_e32 v158, 0xbf763a35, v158
	v_add_f32_e32 v35, v153, v34
	v_fma_f32 v34, v138, s11, -v154
	v_fma_f32 v237, v142, s3, -v236
	v_add_f32_e32 v146, v192, v146
	v_mov_b32_e32 v192, v158
	v_add_f32_e32 v34, v99, v34
	v_fma_f32 v36, v139, s10, -v155
	v_add_f32_e32 v109, v237, v109
	v_mul_f32_e32 v237, 0x3f65296c, v159
	v_fmac_f32_e32 v232, 0xbf7ba420, v138
	v_fmac_f32_e32 v206, 0xbe8c1d8e, v138
	v_fmac_f32_e32 v192, 0xbe8c1d8e, v142
	v_mul_f32_e32 v159, 0xbf4c4adb, v159
	v_add_f32_e32 v34, v36, v34
	v_fma_f32 v36, v140, s2, -v156
	v_fma_f32 v238, v143, s2, -v237
	v_add_f32_e32 v112, v112, v111
	v_add_f32_e32 v111, v99, v232
	v_fmac_f32_e32 v233, 0x3f6eb680, v139
	v_add_f32_e32 v174, v174, v173
	v_add_f32_e32 v173, v99, v206
	v_fmac_f32_e32 v207, 0xbf59a7d5, v139
	v_fmac_f32_e32 v193, 0xbf7ba420, v139
	v_add_f32_e32 v146, v192, v146
	v_mov_b32_e32 v192, v159
	v_add_f32_e32 v34, v36, v34
	v_fma_f32 v36, v141, s16, -v157
	v_add_f32_e32 v109, v238, v109
	v_mul_f32_e32 v238, 0xbf763a35, v160
	v_add_f32_e32 v111, v233, v111
	v_fmac_f32_e32 v234, 0xbf59a7d5, v140
	v_add_f32_e32 v173, v207, v173
	v_fmac_f32_e32 v208, 0x3f3d2fb0, v140
	;; [unrolled: 2-line block ×3, first 2 shown]
	v_fmac_f32_e32 v192, 0xbf1a4643, v143
	v_mul_f32_e32 v160, 0xbf06c442, v160
	v_add_f32_e32 v34, v36, v34
	v_fma_f32 v36, v142, s9, -v158
	v_fma_f32 v239, v144, s9, -v238
	v_add_f32_e32 v111, v234, v111
	v_fmac_f32_e32 v235, 0x3f3d2fb0, v141
	v_add_f32_e32 v173, v208, v173
	v_fmac_f32_e32 v209, 0x3ee437d1, v141
	;; [unrolled: 2-line block ×3, first 2 shown]
	v_add_f32_e32 v146, v192, v146
	v_mov_b32_e32 v192, v160
	v_add_f32_e32 v34, v36, v34
	v_fma_f32 v36, v143, s3, -v159
	v_add_f32_e32 v109, v239, v109
	v_mul_f32_e32 v239, 0x3f7ee86f, v161
	v_add_f32_e32 v111, v235, v111
	v_fmac_f32_e32 v236, 0xbf1a4643, v142
	v_add_f32_e32 v173, v209, v173
	v_fmac_f32_e32 v210, 0xbf7ba420, v142
	;; [unrolled: 2-line block ×3, first 2 shown]
	v_fmac_f32_e32 v192, 0xbf59a7d5, v144
	v_mul_f32_e32 v161, 0xbe3c28d5, v161
	v_add_f32_e32 v34, v36, v34
	v_fma_f32 v36, v144, s17, -v160
	v_add_f32_e32 v111, v236, v111
	v_fmac_f32_e32 v237, 0x3ee437d1, v143
	v_add_f32_e32 v173, v210, v173
	v_fmac_f32_e32 v211, 0x3dbcf732, v143
	;; [unrolled: 2-line block ×3, first 2 shown]
	v_add_f32_e32 v146, v192, v146
	v_mov_b32_e32 v192, v161
	v_add_f32_e32 v34, v36, v34
	v_fma_f32 v36, v145, s8, -v161
	v_add_f32_e32 v111, v237, v111
	v_fmac_f32_e32 v238, 0xbe8c1d8e, v144
	v_mov_b32_e32 v230, v229
	v_add_f32_e32 v173, v211, v173
	v_fmac_f32_e32 v212, 0x3f6eb680, v144
	v_add_f32_e32 v175, v197, v175
	v_fmac_f32_e32 v198, 0xbf1a4643, v144
	v_fmac_f32_e32 v192, 0xbf7ba420, v145
	v_add_f32_e32 v34, v36, v34
	v_mul_lo_u16_e32 v36, 17, v113
	v_fma_f32 v240, v145, s16, -v239
	v_add_f32_e32 v111, v238, v111
	v_fmac_f32_e32 v239, 0x3dbcf732, v145
	v_fmac_f32_e32 v230, 0x3ee437d1, v145
	v_add_f32_e32 v173, v212, v173
	v_fmac_f32_e32 v213, 0xbf1a4643, v145
	v_add_f32_e32 v175, v198, v175
	;; [unrolled: 2-line block ×3, first 2 shown]
	v_lshl_add_u32 v36, v36, 3, v118
	v_add_f32_e32 v109, v240, v109
	v_add_f32_e32 v111, v239, v111
	;; [unrolled: 1-line block ×5, first 2 shown]
	ds_write2_b64 v36, v[0:1], v[146:147] offset1:1
	ds_write2_b64 v36, v[164:165], v[162:163] offset0:2 offset1:3
	ds_write2_b64 v36, v[175:176], v[173:174] offset0:4 offset1:5
	;; [unrolled: 1-line block ×7, first 2 shown]
	ds_write_b64 v36, v[34:35] offset:128
.LBB0_13:
	s_or_b64 exec, exec, s[0:1]
	v_add_u32_e32 v0, 0x800, v119
	s_waitcnt lgkmcnt(0)
	s_barrier
	ds_read2_b64 v[36:39], v0 offset0:16 offset1:84
	v_add_u32_e32 v2, 0x1000, v119
	ds_read2_b64 v[40:43], v2 offset0:32 offset1:100
	v_add_u32_e32 v1, 0x1800, v119
	ds_read2_b64 v[32:35], v119 offset1:68
	s_waitcnt lgkmcnt(2)
	v_mul_f32_e32 v3, v13, v37
	v_mul_f32_e32 v13, v13, v36
	ds_read2_b64 v[44:47], v1 offset0:48 offset1:116
	ds_read2_b64 v[48:51], v119 offset0:136 offset1:204
	;; [unrolled: 1-line block ×5, first 2 shown]
	v_fmac_f32_e32 v3, v12, v36
	v_fma_f32 v12, v12, v37, -v13
	v_mul_f32_e32 v37, v5, v39
	v_mul_f32_e32 v5, v5, v38
	s_waitcnt lgkmcnt(6)
	v_mul_f32_e32 v13, v15, v41
	v_fmac_f32_e32 v37, v4, v38
	v_fma_f32 v38, v4, v39, -v5
	v_mul_f32_e32 v4, v7, v42
	v_fmac_f32_e32 v13, v14, v40
	v_mul_f32_e32 v15, v15, v40
	v_mul_f32_e32 v39, v7, v43
	v_fma_f32 v40, v6, v43, -v4
	s_waitcnt lgkmcnt(4)
	v_mul_f32_e32 v4, v66, v46
	v_fma_f32 v14, v14, v41, -v15
	v_mul_f32_e32 v15, v62, v45
	v_fmac_f32_e32 v39, v6, v42
	v_fma_f32 v42, v65, v47, -v4
	s_waitcnt lgkmcnt(2)
	v_mul_f32_e32 v4, v9, v52
	v_fmac_f32_e32 v15, v61, v44
	v_mul_f32_e32 v36, v62, v44
	v_mul_f32_e32 v41, v66, v47
	v_fma_f32 v44, v8, v53, -v4
	s_waitcnt lgkmcnt(1)
	v_mul_f32_e32 v4, v11, v56
	v_fmac_f32_e32 v41, v65, v46
	v_mul_f32_e32 v43, v9, v53
	v_fma_f32 v46, v10, v57, -v4
	s_waitcnt lgkmcnt(0)
	v_mul_f32_e32 v4, v64, v99
	v_fmac_f32_e32 v43, v8, v52
	v_fma_f32 v52, v63, v100, -v4
	v_mul_f32_e32 v53, v17, v55
	v_mul_f32_e32 v4, v17, v54
	v_fma_f32 v36, v61, v45, -v36
	v_mul_f32_e32 v45, v11, v57
	v_fmac_f32_e32 v53, v16, v54
	v_fma_f32 v54, v16, v55, -v4
	v_mul_f32_e32 v4, v19, v58
	v_fmac_f32_e32 v45, v10, v56
	v_mul_f32_e32 v47, v64, v100
	v_mul_f32_e32 v55, v19, v59
	v_fma_f32 v19, v18, v59, -v4
	v_mul_f32_e32 v56, v68, v102
	v_mul_f32_e32 v4, v68, v101
	v_fmac_f32_e32 v47, v63, v99
	v_fmac_f32_e32 v55, v18, v58
	;; [unrolled: 1-line block ×3, first 2 shown]
	v_fma_f32 v57, v67, v102, -v4
	v_sub_f32_e32 v10, v33, v14
	v_sub_f32_e32 v8, v3, v15
	;; [unrolled: 1-line block ×7, first 2 shown]
	v_fma_f32 v6, v33, 2.0, -v10
	v_fma_f32 v4, v12, 2.0, -v7
	v_sub_f32_e32 v17, v34, v39
	v_sub_f32_e32 v18, v35, v40
	v_fma_f32 v11, v37, 2.0, -v16
	v_fma_f32 v12, v38, 2.0, -v15
	v_sub_f32_e32 v38, v48, v45
	v_sub_f32_e32 v39, v49, v46
	;; [unrolled: 1-line block ×3, first 2 shown]
	v_fma_f32 v33, v44, 2.0, -v36
	v_sub_f32_e32 v46, v50, v55
	v_sub_f32_e32 v19, v51, v19
	;; [unrolled: 1-line block ×4, first 2 shown]
	v_fma_f32 v5, v32, 2.0, -v9
	v_fma_f32 v3, v3, 2.0, -v8
	;; [unrolled: 1-line block ×11, first 2 shown]
	v_sub_f32_e32 v3, v5, v3
	v_sub_f32_e32 v4, v6, v4
	v_add_f32_e32 v7, v9, v7
	v_sub_f32_e32 v8, v10, v8
	v_sub_f32_e32 v11, v13, v11
	v_sub_f32_e32 v12, v14, v12
	v_add_f32_e32 v15, v17, v15
	v_sub_f32_e32 v16, v18, v16
	;; [unrolled: 4-line block ×4, first 2 shown]
	v_fma_f32 v5, v5, 2.0, -v3
	v_fma_f32 v6, v6, 2.0, -v4
	;; [unrolled: 1-line block ×16, first 2 shown]
	s_barrier
	ds_write2_b64 v121, v[5:6], v[9:10] offset1:17
	ds_write2_b64 v121, v[3:4], v[7:8] offset0:34 offset1:51
	ds_write2_b64 v122, v[13:14], v[17:18] offset1:17
	ds_write2_b64 v122, v[11:12], v[15:16] offset0:34 offset1:51
	ds_write2_b64 v123, v[34:35], v[38:39] offset1:17
	ds_write2_b64 v123, v[32:33], v[36:37] offset0:34 offset1:51
	ds_write2_b64 v124, v[42:43], v[46:47] offset1:17
	ds_write2_b64 v124, v[40:41], v[44:45] offset0:34 offset1:51
	s_waitcnt lgkmcnt(0)
	s_barrier
	ds_read2_b64 v[3:6], v119 offset1:68
	ds_read2_b64 v[7:10], v0 offset0:16 offset1:84
	ds_read2_b64 v[11:14], v2 offset0:32 offset1:100
	ds_read2_b64 v[15:18], v1 offset0:48 offset1:116
	ds_read2_b64 v[32:35], v119 offset0:136 offset1:204
	ds_read2_b64 v[36:39], v0 offset0:152 offset1:220
	ds_read2_b64 v[40:43], v2 offset0:168 offset1:236
	ds_read2_b64 v[44:47], v1 offset0:184 offset1:252
	s_waitcnt lgkmcnt(6)
	v_mul_f32_e32 v19, v21, v8
	v_fmac_f32_e32 v19, v20, v7
	v_mul_f32_e32 v7, v21, v7
	v_fma_f32 v7, v20, v8, -v7
	s_waitcnt lgkmcnt(5)
	v_mul_f32_e32 v8, v23, v12
	v_fmac_f32_e32 v8, v22, v11
	v_mul_f32_e32 v11, v23, v11
	v_fma_f32 v11, v22, v12, -v11
	;; [unrolled: 5-line block ×3, first 2 shown]
	v_mul_f32_e32 v16, v21, v10
	v_fmac_f32_e32 v16, v20, v9
	v_mul_f32_e32 v9, v21, v9
	v_fma_f32 v20, v20, v10, -v9
	v_mul_f32_e32 v21, v23, v14
	v_mul_f32_e32 v9, v23, v13
	v_fmac_f32_e32 v21, v22, v13
	v_fma_f32 v13, v22, v14, -v9
	v_mul_f32_e32 v14, v70, v18
	v_mul_f32_e32 v9, v70, v17
	v_fmac_f32_e32 v14, v69, v17
	v_fma_f32 v17, v69, v18, -v9
	s_waitcnt lgkmcnt(2)
	v_mul_f32_e32 v9, v25, v36
	v_fma_f32 v23, v24, v37, -v9
	s_waitcnt lgkmcnt(1)
	v_mul_f32_e32 v9, v27, v40
	v_mul_f32_e32 v22, v25, v37
	v_fma_f32 v25, v26, v41, -v9
	s_waitcnt lgkmcnt(0)
	v_mul_f32_e32 v9, v72, v44
	v_fmac_f32_e32 v22, v24, v36
	v_mul_f32_e32 v24, v27, v41
	v_fma_f32 v27, v71, v45, -v9
	v_mul_f32_e32 v36, v29, v39
	v_mul_f32_e32 v9, v29, v38
	v_fmac_f32_e32 v36, v28, v38
	v_fma_f32 v28, v28, v39, -v9
	v_mul_f32_e32 v29, v31, v43
	v_mul_f32_e32 v9, v31, v42
	v_fmac_f32_e32 v29, v30, v42
	v_fma_f32 v30, v30, v43, -v9
	v_mul_f32_e32 v9, v74, v46
	v_sub_f32_e32 v18, v3, v8
	v_sub_f32_e32 v38, v4, v11
	v_sub_f32_e32 v10, v19, v12
	v_sub_f32_e32 v11, v7, v15
	v_fmac_f32_e32 v24, v26, v40
	v_mul_f32_e32 v26, v72, v45
	v_fma_f32 v37, v73, v47, -v9
	v_fma_f32 v8, v3, 2.0, -v18
	v_fma_f32 v9, v4, 2.0, -v38
	;; [unrolled: 1-line block ×4, first 2 shown]
	v_fmac_f32_e32 v26, v71, v44
	v_sub_f32_e32 v3, v8, v3
	v_sub_f32_e32 v4, v9, v4
	;; [unrolled: 1-line block ×4, first 2 shown]
	v_fma_f32 v7, v8, 2.0, -v3
	v_fma_f32 v8, v9, 2.0, -v4
	v_add_f32_e32 v9, v18, v11
	v_sub_f32_e32 v10, v38, v10
	v_fma_f32 v15, v6, 2.0, -v19
	v_fma_f32 v6, v20, 2.0, -v17
	v_sub_f32_e32 v39, v33, v25
	v_sub_f32_e32 v25, v22, v26
	;; [unrolled: 1-line block ×3, first 2 shown]
	v_mul_f32_e32 v31, v74, v47
	v_fma_f32 v11, v18, 2.0, -v9
	v_fma_f32 v12, v38, 2.0, -v10
	v_sub_f32_e32 v18, v5, v21
	v_sub_f32_e32 v21, v16, v14
	;; [unrolled: 1-line block ×4, first 2 shown]
	v_fma_f32 v24, v33, 2.0, -v39
	v_fma_f32 v20, v23, 2.0, -v26
	v_fmac_f32_e32 v31, v73, v46
	v_fma_f32 v13, v5, 2.0, -v18
	v_fma_f32 v5, v16, 2.0, -v21
	;; [unrolled: 1-line block ×3, first 2 shown]
	v_add_f32_e32 v15, v18, v17
	v_sub_f32_e32 v16, v19, v21
	v_sub_f32_e32 v20, v24, v20
	v_add_f32_e32 v23, v38, v26
	v_fma_f32 v17, v18, 2.0, -v15
	v_fma_f32 v18, v19, 2.0, -v16
	;; [unrolled: 1-line block ×5, first 2 shown]
	v_sub_f32_e32 v24, v39, v25
	v_fma_f32 v25, v38, 2.0, -v23
	v_sub_f32_e32 v33, v34, v29
	v_sub_f32_e32 v38, v35, v30
	;; [unrolled: 1-line block ×6, first 2 shown]
	v_fma_f32 v29, v34, 2.0, -v33
	v_fma_f32 v30, v35, 2.0, -v38
	;; [unrolled: 1-line block ×7, first 2 shown]
	v_sub_f32_e32 v27, v29, v27
	v_sub_f32_e32 v28, v30, v28
	v_add_f32_e32 v31, v33, v31
	v_sub_f32_e32 v32, v38, v32
	s_barrier
	ds_write2_b64 v119, v[7:8], v[11:12] offset1:68
	ds_write2_b64 v119, v[3:4], v[9:10] offset0:136 offset1:204
	ds_write2_b64 v0, v[13:14], v[17:18] offset0:16 offset1:84
	ds_write2_b64 v0, v[5:6], v[15:16] offset0:152 offset1:220
	v_add_u32_e32 v3, 0x1000, v125
	v_fma_f32 v29, v29, 2.0, -v27
	v_fma_f32 v30, v30, 2.0, -v28
	;; [unrolled: 1-line block ×4, first 2 shown]
	ds_write2_b64 v3, v[21:22], v[25:26] offset0:32 offset1:100
	ds_write2_b64 v3, v[19:20], v[23:24] offset0:168 offset1:236
	v_add_u32_e32 v3, 0x1800, v126
	ds_write2_b64 v3, v[29:30], v[33:34] offset0:48 offset1:116
	ds_write2_b64 v3, v[27:28], v[31:32] offset0:184 offset1:252
	s_waitcnt lgkmcnt(0)
	s_barrier
	ds_read2_b64 v[3:6], v119 offset1:68
	ds_read2_b64 v[7:10], v2 offset0:32 offset1:100
	ds_read2_b64 v[11:14], v119 offset0:136 offset1:204
	;; [unrolled: 1-line block ×7, first 2 shown]
	s_waitcnt lgkmcnt(6)
	v_mul_f32_e32 v35, v76, v8
	v_fmac_f32_e32 v35, v75, v7
	v_mul_f32_e32 v7, v76, v7
	v_fma_f32 v8, v75, v8, -v7
	v_mul_f32_e32 v7, v78, v9
	v_mul_f32_e32 v36, v78, v10
	v_fma_f32 v10, v77, v10, -v7
	s_waitcnt lgkmcnt(4)
	v_mul_f32_e32 v7, v80, v15
	v_mul_f32_e32 v37, v80, v16
	v_fma_f32 v16, v79, v16, -v7
	v_mul_f32_e32 v7, v82, v17
	v_mul_f32_e32 v38, v82, v18
	v_fma_f32 v18, v81, v18, -v7
	s_waitcnt lgkmcnt(2)
	v_mul_f32_e32 v7, v76, v23
	;; [unrolled: 7-line block ×3, first 2 shown]
	v_mul_f32_e32 v41, v80, v32
	v_fma_f32 v32, v79, v32, -v7
	v_mul_f32_e32 v42, v82, v34
	v_mul_f32_e32 v7, v82, v33
	v_fmac_f32_e32 v36, v77, v9
	v_fmac_f32_e32 v37, v79, v15
	;; [unrolled: 1-line block ×7, first 2 shown]
	v_fma_f32 v34, v81, v34, -v7
	v_sub_f32_e32 v7, v3, v35
	v_sub_f32_e32 v8, v4, v8
	;; [unrolled: 1-line block ×16, first 2 shown]
	v_fma_f32 v3, v3, 2.0, -v7
	v_fma_f32 v4, v4, 2.0, -v8
	;; [unrolled: 1-line block ×16, first 2 shown]
	s_barrier
	ds_write2_b64 v119, v[3:4], v[5:6] offset1:68
	ds_write2_b64 v0, v[7:8], v[9:10] offset0:16 offset1:84
	ds_write2_b64 v119, v[11:12], v[13:14] offset0:136 offset1:204
	;; [unrolled: 1-line block ×7, first 2 shown]
	s_waitcnt lgkmcnt(0)
	s_barrier
	ds_read2_b64 v[3:6], v119 offset1:68
	ds_read2_b64 v[7:10], v2 offset0:32 offset1:100
	ds_read2_b64 v[11:14], v119 offset0:136 offset1:204
	;; [unrolled: 1-line block ×7, first 2 shown]
	s_waitcnt lgkmcnt(6)
	v_mul_f32_e32 v1, v84, v7
	v_mul_f32_e32 v2, v86, v9
	;; [unrolled: 1-line block ×3, first 2 shown]
	v_fma_f32 v1, v83, v8, -v1
	v_fma_f32 v8, v85, v10, -v2
	s_waitcnt lgkmcnt(4)
	v_mul_f32_e32 v2, v88, v15
	v_fmac_f32_e32 v0, v83, v7
	v_mul_f32_e32 v7, v86, v10
	v_fma_f32 v10, v87, v16, -v2
	v_mul_f32_e32 v2, v90, v17
	v_fmac_f32_e32 v7, v85, v9
	v_mul_f32_e32 v9, v88, v16
	v_fma_f32 v16, v89, v18, -v2
	s_waitcnt lgkmcnt(2)
	v_mul_f32_e32 v2, v92, v23
	v_fmac_f32_e32 v9, v87, v15
	v_mul_f32_e32 v15, v90, v18
	v_fma_f32 v18, v91, v24, -v2
	v_mul_f32_e32 v2, v94, v25
	v_fmac_f32_e32 v15, v89, v17
	v_mul_f32_e32 v17, v92, v24
	v_fma_f32 v24, v93, v26, -v2
	s_waitcnt lgkmcnt(0)
	v_mul_f32_e32 v2, v96, v31
	v_fmac_f32_e32 v17, v91, v23
	v_mul_f32_e32 v23, v94, v26
	v_fma_f32 v26, v95, v32, -v2
	v_mul_f32_e32 v2, v98, v33
	v_sub_f32_e32 v0, v3, v0
	v_sub_f32_e32 v1, v4, v1
	v_sub_f32_e32 v7, v5, v7
	v_sub_f32_e32 v8, v6, v8
	v_fmac_f32_e32 v23, v93, v25
	v_mul_f32_e32 v25, v96, v32
	v_fma_f32 v32, v97, v34, -v2
	v_fma_f32 v2, v3, 2.0, -v0
	v_fma_f32 v3, v4, 2.0, -v1
	;; [unrolled: 1-line block ×4, first 2 shown]
	v_fmac_f32_e32 v25, v95, v31
	v_mul_f32_e32 v31, v98, v34
	v_sub_f32_e32 v9, v11, v9
	v_sub_f32_e32 v10, v12, v10
	;; [unrolled: 1-line block ×8, first 2 shown]
	ds_write2_b64 v127, v[2:3], v[4:5] offset1:68
	v_add_u32_e32 v2, 0x1000, v127
	v_fmac_f32_e32 v31, v97, v33
	v_fma_f32 v11, v11, 2.0, -v9
	v_fma_f32 v12, v12, 2.0, -v10
	;; [unrolled: 1-line block ×8, first 2 shown]
	ds_write2_b64 v2, v[0:1], v[7:8] offset0:32 offset1:100
	ds_write2_b64 v127, v[11:12], v[13:14] offset0:136 offset1:204
	;; [unrolled: 1-line block ×3, first 2 shown]
	v_add_u32_e32 v0, 0x800, v127
	v_sub_f32_e32 v25, v27, v25
	v_sub_f32_e32 v26, v28, v26
	;; [unrolled: 1-line block ×4, first 2 shown]
	ds_write2_b64 v0, v[19:20], v[21:22] offset0:16 offset1:84
	v_add_u32_e32 v0, 0x1800, v127
	v_fma_f32 v27, v27, 2.0, -v25
	v_fma_f32 v28, v28, 2.0, -v26
	;; [unrolled: 1-line block ×4, first 2 shown]
	ds_write2_b64 v0, v[17:18], v[23:24] offset0:48 offset1:116
	ds_write_b64 v127, v[27:28] offset:3264
	ds_write_b64 v129, v[25:26] offset:4352
	;; [unrolled: 1-line block ×4, first 2 shown]
	s_waitcnt lgkmcnt(0)
	s_barrier
	s_and_b64 exec, exec, vcc
	s_cbranch_execz .LBB0_15
; %bb.14:
	global_load_dwordx2 v[0:1], v114, s[12:13]
	ds_read_b64 v[4:5], v117
	v_mad_u64_u32 v[2:3], s[0:1], s6, v60, 0
	v_mad_u64_u32 v[6:7], s[0:1], s4, v113, 0
	s_waitcnt lgkmcnt(0)
	v_mad_u64_u32 v[8:9], s[2:3], s7, v60, v[3:4]
	s_mov_b32 s0, 0x1e1e1e1e
	s_mov_b32 s1, 0x3f4e1e1e
	v_mad_u64_u32 v[9:10], s[2:3], s5, v113, v[7:8]
	v_mov_b32_e32 v11, s15
	v_mad_u64_u32 v[13:14], s[2:3], s4, v115, 0
	v_mov_b32_e32 v7, v9
	s_waitcnt vmcnt(0)
	v_mul_f32_e32 v3, v5, v1
	v_mul_f32_e32 v1, v4, v1
	v_fmac_f32_e32 v3, v4, v0
	v_fma_f32 v4, v0, v5, -v1
	v_cvt_f64_f32_e32 v[0:1], v3
	v_cvt_f64_f32_e32 v[4:5], v4
	v_mov_b32_e32 v3, v8
	v_mul_f64 v[8:9], v[0:1], s[0:1]
	v_mul_f64 v[4:5], v[4:5], s[0:1]
	v_lshlrev_b64 v[0:1], 3, v[2:3]
	v_lshlrev_b64 v[2:3], 3, v[6:7]
	v_add_co_u32_e32 v0, vcc, s14, v0
	v_addc_co_u32_e32 v1, vcc, v11, v1, vcc
	v_cvt_f32_f64_e32 v6, v[8:9]
	v_cvt_f32_f64_e32 v7, v[4:5]
	v_add_co_u32_e32 v2, vcc, v0, v2
	v_addc_co_u32_e32 v3, vcc, v1, v3, vcc
	global_store_dwordx2 v[2:3], v[6:7], off
	global_load_dwordx2 v[11:12], v114, s[12:13] offset:512
	v_lshl_add_u32 v2, v116, 3, v120
	ds_read2st64_b64 v[3:6], v2 offset0:1 offset1:2
	ds_read2st64_b64 v[7:10], v2 offset0:3 offset1:4
	s_waitcnt vmcnt(0) lgkmcnt(1)
	v_mul_f32_e32 v15, v4, v12
	v_mul_f32_e32 v12, v3, v12
	v_fmac_f32_e32 v15, v3, v11
	v_fma_f32 v11, v11, v4, -v12
	v_cvt_f64_f32_e32 v[3:4], v15
	v_cvt_f64_f32_e32 v[11:12], v11
	v_mad_u64_u32 v[14:15], s[2:3], s5, v115, v[14:15]
	v_mul_f64 v[3:4], v[3:4], s[0:1]
	v_mul_f64 v[11:12], v[11:12], s[0:1]
	v_lshlrev_b64 v[13:14], 3, v[13:14]
	v_or_b32_e32 v15, 0x140, v113
	v_cvt_f32_f64_e32 v3, v[3:4]
	v_cvt_f32_f64_e32 v4, v[11:12]
	v_add_co_u32_e32 v11, vcc, v0, v13
	v_addc_co_u32_e32 v12, vcc, v1, v14, vcc
	global_store_dwordx2 v[11:12], v[3:4], off
	global_load_dwordx2 v[3:4], v114, s[12:13] offset:1024
	v_or_b32_e32 v13, 0x80, v113
	v_mad_u64_u32 v[11:12], s[2:3], s4, v13, 0
	v_mad_u64_u32 v[12:13], s[2:3], s5, v13, v[12:13]
	v_lshlrev_b64 v[11:12], 3, v[11:12]
	s_waitcnt vmcnt(0)
	v_mul_f32_e32 v14, v6, v4
	v_mul_f32_e32 v4, v5, v4
	v_fmac_f32_e32 v14, v5, v3
	v_fma_f32 v5, v3, v6, -v4
	v_cvt_f64_f32_e32 v[3:4], v14
	v_cvt_f64_f32_e32 v[5:6], v5
	v_mad_u64_u32 v[13:14], s[2:3], s4, v15, 0
	v_mul_f64 v[3:4], v[3:4], s[0:1]
	v_mul_f64 v[5:6], v[5:6], s[0:1]
	v_mad_u64_u32 v[14:15], s[2:3], s5, v15, v[14:15]
	v_or_b32_e32 v15, 0x240, v113
	v_lshlrev_b64 v[13:14], 3, v[13:14]
	v_cvt_f32_f64_e32 v3, v[3:4]
	v_cvt_f32_f64_e32 v4, v[5:6]
	v_add_co_u32_e32 v5, vcc, v0, v11
	v_addc_co_u32_e32 v6, vcc, v1, v12, vcc
	global_store_dwordx2 v[5:6], v[3:4], off
	global_load_dwordx2 v[3:4], v114, s[12:13] offset:1536
	v_or_b32_e32 v11, 0xc0, v113
	v_mad_u64_u32 v[5:6], s[2:3], s4, v11, 0
	s_waitcnt vmcnt(0) lgkmcnt(0)
	v_mul_f32_e32 v12, v8, v4
	v_mul_f32_e32 v4, v7, v4
	v_fmac_f32_e32 v12, v7, v3
	v_fma_f32 v7, v3, v8, -v4
	v_cvt_f64_f32_e32 v[7:8], v7
	v_cvt_f64_f32_e32 v[3:4], v12
	v_mul_f64 v[7:8], v[7:8], s[0:1]
	v_mul_f64 v[3:4], v[3:4], s[0:1]
	v_mad_u64_u32 v[11:12], s[2:3], s5, v11, v[6:7]
	v_cvt_f32_f64_e32 v3, v[3:4]
	v_cvt_f32_f64_e32 v4, v[7:8]
	v_mov_b32_e32 v6, v11
	v_lshlrev_b64 v[5:6], 3, v[5:6]
	v_or_b32_e32 v11, 0x100, v113
	v_add_co_u32_e32 v5, vcc, v0, v5
	v_addc_co_u32_e32 v6, vcc, v1, v6, vcc
	global_store_dwordx2 v[5:6], v[3:4], off
	global_load_dwordx2 v[3:4], v114, s[12:13] offset:2048
	v_mad_u64_u32 v[5:6], s[2:3], s4, v11, 0
	s_waitcnt vmcnt(0)
	v_mul_f32_e32 v7, v10, v4
	v_mul_f32_e32 v4, v9, v4
	v_fmac_f32_e32 v7, v9, v3
	v_fma_f32 v8, v3, v10, -v4
	v_cvt_f64_f32_e32 v[3:4], v7
	v_cvt_f64_f32_e32 v[7:8], v8
	v_mul_f64 v[3:4], v[3:4], s[0:1]
	v_mul_f64 v[7:8], v[7:8], s[0:1]
	v_cvt_f32_f64_e32 v3, v[3:4]
	v_mad_u64_u32 v[9:10], s[2:3], s5, v11, v[6:7]
	v_cvt_f32_f64_e32 v4, v[7:8]
	v_mov_b32_e32 v6, v9
	v_lshlrev_b64 v[5:6], 3, v[5:6]
	ds_read2st64_b64 v[7:10], v2 offset0:7 offset1:8
	v_add_co_u32_e32 v5, vcc, v0, v5
	v_addc_co_u32_e32 v6, vcc, v1, v6, vcc
	global_store_dwordx2 v[5:6], v[3:4], off
	global_load_dwordx2 v[11:12], v114, s[12:13] offset:2560
	ds_read2st64_b64 v[3:6], v2 offset0:5 offset1:6
	s_waitcnt vmcnt(0) lgkmcnt(0)
	v_mul_f32_e32 v16, v4, v12
	v_mul_f32_e32 v12, v3, v12
	v_fmac_f32_e32 v16, v3, v11
	v_fma_f32 v11, v11, v4, -v12
	v_cvt_f64_f32_e32 v[3:4], v16
	v_cvt_f64_f32_e32 v[11:12], v11
	v_mul_f64 v[3:4], v[3:4], s[0:1]
	v_mul_f64 v[11:12], v[11:12], s[0:1]
	v_cvt_f32_f64_e32 v3, v[3:4]
	v_cvt_f32_f64_e32 v4, v[11:12]
	v_add_co_u32_e32 v11, vcc, v0, v13
	v_addc_co_u32_e32 v12, vcc, v1, v14, vcc
	global_store_dwordx2 v[11:12], v[3:4], off
	global_load_dwordx2 v[3:4], v114, s[12:13] offset:3072
	v_or_b32_e32 v13, 0x180, v113
	v_mad_u64_u32 v[11:12], s[2:3], s4, v13, 0
	v_mad_u64_u32 v[12:13], s[2:3], s5, v13, v[12:13]
	v_lshlrev_b64 v[11:12], 3, v[11:12]
	s_waitcnt vmcnt(0)
	v_mul_f32_e32 v14, v6, v4
	v_mul_f32_e32 v4, v5, v4
	v_fmac_f32_e32 v14, v5, v3
	v_fma_f32 v5, v3, v6, -v4
	v_cvt_f64_f32_e32 v[3:4], v14
	v_cvt_f64_f32_e32 v[5:6], v5
	v_mul_f64 v[3:4], v[3:4], s[0:1]
	v_mul_f64 v[5:6], v[5:6], s[0:1]
	v_cvt_f32_f64_e32 v3, v[3:4]
	v_cvt_f32_f64_e32 v4, v[5:6]
	v_add_co_u32_e32 v5, vcc, v0, v11
	v_addc_co_u32_e32 v6, vcc, v1, v12, vcc
	global_store_dwordx2 v[5:6], v[3:4], off
	global_load_dwordx2 v[3:4], v114, s[12:13] offset:3584
	v_or_b32_e32 v11, 0x1c0, v113
	v_mad_u64_u32 v[5:6], s[2:3], s4, v11, 0
	s_waitcnt vmcnt(0)
	v_mul_f32_e32 v12, v8, v4
	v_mul_f32_e32 v4, v7, v4
	v_fmac_f32_e32 v12, v7, v3
	v_fma_f32 v7, v3, v8, -v4
	v_cvt_f64_f32_e32 v[7:8], v7
	v_cvt_f64_f32_e32 v[3:4], v12
	v_mul_f64 v[7:8], v[7:8], s[0:1]
	v_mul_f64 v[3:4], v[3:4], s[0:1]
	v_mad_u64_u32 v[11:12], s[2:3], s5, v11, v[6:7]
	v_cvt_f32_f64_e32 v3, v[3:4]
	v_cvt_f32_f64_e32 v4, v[7:8]
	v_mov_b32_e32 v6, v11
	v_lshlrev_b64 v[5:6], 3, v[5:6]
	v_or_b32_e32 v12, 0x200, v113
	v_add_co_u32_e32 v5, vcc, v0, v5
	v_addc_co_u32_e32 v6, vcc, v1, v6, vcc
	v_lshlrev_b32_e32 v13, 3, v12
	global_store_dwordx2 v[5:6], v[3:4], off
	global_load_dwordx2 v[3:4], v13, s[12:13]
	v_mad_u64_u32 v[5:6], s[2:3], s4, v12, 0
	v_mad_u64_u32 v[13:14], s[2:3], s4, v15, 0
	s_waitcnt vmcnt(0)
	v_mul_f32_e32 v7, v10, v4
	v_mul_f32_e32 v4, v9, v4
	v_fmac_f32_e32 v7, v9, v3
	v_fma_f32 v8, v3, v10, -v4
	v_cvt_f64_f32_e32 v[3:4], v7
	v_cvt_f64_f32_e32 v[7:8], v8
	v_mul_f64 v[3:4], v[3:4], s[0:1]
	v_mul_f64 v[7:8], v[7:8], s[0:1]
	v_cvt_f32_f64_e32 v3, v[3:4]
	v_mad_u64_u32 v[9:10], s[2:3], s5, v12, v[6:7]
	v_cvt_f32_f64_e32 v4, v[7:8]
	v_lshlrev_b32_e32 v10, 3, v15
	v_mov_b32_e32 v6, v9
	v_lshlrev_b64 v[5:6], 3, v[5:6]
	v_mad_u64_u32 v[14:15], s[2:3], s5, v15, v[14:15]
	v_add_co_u32_e32 v5, vcc, v0, v5
	v_addc_co_u32_e32 v6, vcc, v1, v6, vcc
	global_store_dwordx2 v[5:6], v[3:4], off
	global_load_dwordx2 v[11:12], v10, s[12:13]
	ds_read2st64_b64 v[3:6], v2 offset0:9 offset1:10
	ds_read2st64_b64 v[7:10], v2 offset0:11 offset1:12
	v_lshlrev_b64 v[13:14], 3, v[13:14]
	v_or_b32_e32 v15, 0x280, v113
	s_waitcnt vmcnt(0) lgkmcnt(1)
	v_mul_f32_e32 v16, v4, v12
	v_mul_f32_e32 v12, v3, v12
	v_fmac_f32_e32 v16, v3, v11
	v_fma_f32 v11, v11, v4, -v12
	v_cvt_f64_f32_e32 v[3:4], v16
	v_cvt_f64_f32_e32 v[11:12], v11
	v_lshlrev_b32_e32 v16, 3, v15
	v_mul_f64 v[3:4], v[3:4], s[0:1]
	v_mul_f64 v[11:12], v[11:12], s[0:1]
	v_cvt_f32_f64_e32 v3, v[3:4]
	v_cvt_f32_f64_e32 v4, v[11:12]
	v_add_co_u32_e32 v11, vcc, v0, v13
	v_addc_co_u32_e32 v12, vcc, v1, v14, vcc
	global_store_dwordx2 v[11:12], v[3:4], off
	global_load_dwordx2 v[3:4], v16, s[12:13]
	v_mad_u64_u32 v[11:12], s[2:3], s4, v15, 0
	s_waitcnt vmcnt(0)
	v_mul_f32_e32 v13, v6, v4
	v_mul_f32_e32 v4, v5, v4
	v_fmac_f32_e32 v13, v5, v3
	v_fma_f32 v5, v3, v6, -v4
	v_cvt_f64_f32_e32 v[3:4], v13
	v_cvt_f64_f32_e32 v[5:6], v5
	v_mad_u64_u32 v[12:13], s[2:3], s5, v15, v[12:13]
	v_mul_f64 v[3:4], v[3:4], s[0:1]
	v_mul_f64 v[5:6], v[5:6], s[0:1]
	v_lshlrev_b64 v[11:12], 3, v[11:12]
	v_or_b32_e32 v13, 0x2c0, v113
	v_lshlrev_b32_e32 v14, 3, v13
	v_or_b32_e32 v15, 0x340, v113
	v_cvt_f32_f64_e32 v3, v[3:4]
	v_cvt_f32_f64_e32 v4, v[5:6]
	v_add_co_u32_e32 v5, vcc, v0, v11
	v_addc_co_u32_e32 v6, vcc, v1, v12, vcc
	global_store_dwordx2 v[5:6], v[3:4], off
	global_load_dwordx2 v[3:4], v14, s[12:13]
	v_mad_u64_u32 v[5:6], s[2:3], s4, v13, 0
	s_waitcnt vmcnt(0) lgkmcnt(0)
	v_mul_f32_e32 v11, v8, v4
	v_mul_f32_e32 v4, v7, v4
	v_fmac_f32_e32 v11, v7, v3
	v_fma_f32 v7, v3, v8, -v4
	v_cvt_f64_f32_e32 v[7:8], v7
	v_cvt_f64_f32_e32 v[3:4], v11
	v_mul_f64 v[7:8], v[7:8], s[0:1]
	v_mul_f64 v[3:4], v[3:4], s[0:1]
	v_mad_u64_u32 v[11:12], s[2:3], s5, v13, v[6:7]
	v_cvt_f32_f64_e32 v3, v[3:4]
	v_cvt_f32_f64_e32 v4, v[7:8]
	v_mov_b32_e32 v6, v11
	v_lshlrev_b64 v[5:6], 3, v[5:6]
	v_or_b32_e32 v12, 0x300, v113
	v_add_co_u32_e32 v5, vcc, v0, v5
	v_addc_co_u32_e32 v6, vcc, v1, v6, vcc
	v_lshlrev_b32_e32 v13, 3, v12
	global_store_dwordx2 v[5:6], v[3:4], off
	global_load_dwordx2 v[3:4], v13, s[12:13]
	v_mad_u64_u32 v[5:6], s[2:3], s4, v12, 0
	v_mad_u64_u32 v[13:14], s[2:3], s4, v15, 0
	s_waitcnt vmcnt(0)
	v_mul_f32_e32 v7, v10, v4
	v_mul_f32_e32 v4, v9, v4
	v_fmac_f32_e32 v7, v9, v3
	v_fma_f32 v8, v3, v10, -v4
	v_cvt_f64_f32_e32 v[3:4], v7
	v_cvt_f64_f32_e32 v[7:8], v8
	v_mul_f64 v[3:4], v[3:4], s[0:1]
	v_mul_f64 v[7:8], v[7:8], s[0:1]
	v_cvt_f32_f64_e32 v3, v[3:4]
	v_mad_u64_u32 v[9:10], s[2:3], s5, v12, v[6:7]
	v_cvt_f32_f64_e32 v4, v[7:8]
	v_lshlrev_b32_e32 v10, 3, v15
	v_mov_b32_e32 v6, v9
	v_lshlrev_b64 v[5:6], 3, v[5:6]
	v_add_co_u32_e32 v5, vcc, v0, v5
	v_addc_co_u32_e32 v6, vcc, v1, v6, vcc
	global_store_dwordx2 v[5:6], v[3:4], off
	global_load_dwordx2 v[11:12], v10, s[12:13]
	ds_read2st64_b64 v[3:6], v2 offset0:13 offset1:14
	ds_read2st64_b64 v[7:10], v2 offset0:15 offset1:16
	s_waitcnt vmcnt(0) lgkmcnt(1)
	v_mul_f32_e32 v2, v4, v12
	v_mul_f32_e32 v12, v3, v12
	v_fmac_f32_e32 v2, v3, v11
	v_fma_f32 v4, v11, v4, -v12
	v_cvt_f64_f32_e32 v[2:3], v2
	v_cvt_f64_f32_e32 v[11:12], v4
	v_mov_b32_e32 v4, v14
	v_mad_u64_u32 v[14:15], s[2:3], s5, v15, v[4:5]
	v_mul_f64 v[2:3], v[2:3], s[0:1]
	v_mul_f64 v[11:12], v[11:12], s[0:1]
	v_lshlrev_b64 v[13:14], 3, v[13:14]
	v_or_b32_e32 v15, 0x380, v113
	v_lshlrev_b32_e32 v4, 3, v15
	v_cvt_f32_f64_e32 v2, v[2:3]
	v_cvt_f32_f64_e32 v3, v[11:12]
	v_add_co_u32_e32 v11, vcc, v0, v13
	v_addc_co_u32_e32 v12, vcc, v1, v14, vcc
	global_store_dwordx2 v[11:12], v[2:3], off
	global_load_dwordx2 v[2:3], v4, s[12:13]
	v_mad_u64_u32 v[11:12], s[2:3], s4, v15, 0
	s_waitcnt vmcnt(0)
	v_mul_f32_e32 v4, v6, v3
	v_mul_f32_e32 v3, v5, v3
	v_fmac_f32_e32 v4, v5, v2
	v_fma_f32 v5, v2, v6, -v3
	v_cvt_f64_f32_e32 v[2:3], v4
	v_cvt_f64_f32_e32 v[4:5], v5
	v_mov_b32_e32 v6, v12
	s_waitcnt lgkmcnt(0)
	v_mad_u64_u32 v[12:13], s[2:3], s5, v15, v[6:7]
	v_mul_f64 v[2:3], v[2:3], s[0:1]
	v_mul_f64 v[4:5], v[4:5], s[0:1]
	v_lshlrev_b64 v[11:12], 3, v[11:12]
	v_or_b32_e32 v13, 0x3c0, v113
	v_lshlrev_b32_e32 v6, 3, v13
	v_cvt_f32_f64_e32 v2, v[2:3]
	v_cvt_f32_f64_e32 v3, v[4:5]
	v_add_co_u32_e32 v4, vcc, v0, v11
	v_addc_co_u32_e32 v5, vcc, v1, v12, vcc
	global_store_dwordx2 v[4:5], v[2:3], off
	global_load_dwordx2 v[2:3], v6, s[12:13]
	v_mad_u64_u32 v[4:5], s[2:3], s4, v13, 0
	s_waitcnt vmcnt(0)
	v_mul_f32_e32 v6, v8, v3
	v_mul_f32_e32 v3, v7, v3
	v_fmac_f32_e32 v6, v7, v2
	v_fma_f32 v7, v2, v8, -v3
	v_cvt_f64_f32_e32 v[2:3], v6
	v_cvt_f64_f32_e32 v[6:7], v7
	v_or_b32_e32 v8, 0x400, v113
	v_mul_f64 v[2:3], v[2:3], s[0:1]
	v_mul_f64 v[6:7], v[6:7], s[0:1]
	v_cvt_f32_f64_e32 v2, v[2:3]
	v_mad_u64_u32 v[11:12], s[2:3], s5, v13, v[5:6]
	v_cvt_f32_f64_e32 v3, v[6:7]
	v_lshlrev_b32_e32 v12, 3, v8
	v_mov_b32_e32 v5, v11
	v_lshlrev_b64 v[4:5], 3, v[4:5]
	v_add_co_u32_e32 v4, vcc, v0, v4
	v_addc_co_u32_e32 v5, vcc, v1, v5, vcc
	global_store_dwordx2 v[4:5], v[2:3], off
	global_load_dwordx2 v[2:3], v12, s[12:13]
	v_mad_u64_u32 v[4:5], s[2:3], s4, v8, 0
	s_waitcnt vmcnt(0)
	v_mul_f32_e32 v6, v10, v3
	v_mul_f32_e32 v3, v9, v3
	v_fmac_f32_e32 v6, v9, v2
	v_fma_f32 v7, v2, v10, -v3
	v_cvt_f64_f32_e32 v[2:3], v6
	v_cvt_f64_f32_e32 v[6:7], v7
	v_mul_f64 v[2:3], v[2:3], s[0:1]
	v_mul_f64 v[6:7], v[6:7], s[0:1]
	v_cvt_f32_f64_e32 v2, v[2:3]
	v_mad_u64_u32 v[8:9], s[0:1], s5, v8, v[5:6]
	v_cvt_f32_f64_e32 v3, v[6:7]
	v_mov_b32_e32 v5, v8
	v_lshlrev_b64 v[4:5], 3, v[4:5]
	v_add_co_u32_e32 v0, vcc, v0, v4
	v_addc_co_u32_e32 v1, vcc, v1, v5, vcc
	global_store_dwordx2 v[0:1], v[2:3], off
.LBB0_15:
	s_endpgm
	.section	.rodata,"a",@progbits
	.p2align	6, 0x0
	.amdhsa_kernel bluestein_single_back_len1088_dim1_sp_op_CI_CI
		.amdhsa_group_segment_fixed_size 26112
		.amdhsa_private_segment_fixed_size 0
		.amdhsa_kernarg_size 104
		.amdhsa_user_sgpr_count 6
		.amdhsa_user_sgpr_private_segment_buffer 1
		.amdhsa_user_sgpr_dispatch_ptr 0
		.amdhsa_user_sgpr_queue_ptr 0
		.amdhsa_user_sgpr_kernarg_segment_ptr 1
		.amdhsa_user_sgpr_dispatch_id 0
		.amdhsa_user_sgpr_flat_scratch_init 0
		.amdhsa_user_sgpr_private_segment_size 0
		.amdhsa_uses_dynamic_stack 0
		.amdhsa_system_sgpr_private_segment_wavefront_offset 0
		.amdhsa_system_sgpr_workgroup_id_x 1
		.amdhsa_system_sgpr_workgroup_id_y 0
		.amdhsa_system_sgpr_workgroup_id_z 0
		.amdhsa_system_sgpr_workgroup_info 0
		.amdhsa_system_vgpr_workitem_id 0
		.amdhsa_next_free_vgpr 241
		.amdhsa_next_free_sgpr 18
		.amdhsa_reserve_vcc 1
		.amdhsa_reserve_flat_scratch 0
		.amdhsa_float_round_mode_32 0
		.amdhsa_float_round_mode_16_64 0
		.amdhsa_float_denorm_mode_32 3
		.amdhsa_float_denorm_mode_16_64 3
		.amdhsa_dx10_clamp 1
		.amdhsa_ieee_mode 1
		.amdhsa_fp16_overflow 0
		.amdhsa_exception_fp_ieee_invalid_op 0
		.amdhsa_exception_fp_denorm_src 0
		.amdhsa_exception_fp_ieee_div_zero 0
		.amdhsa_exception_fp_ieee_overflow 0
		.amdhsa_exception_fp_ieee_underflow 0
		.amdhsa_exception_fp_ieee_inexact 0
		.amdhsa_exception_int_div_zero 0
	.end_amdhsa_kernel
	.text
.Lfunc_end0:
	.size	bluestein_single_back_len1088_dim1_sp_op_CI_CI, .Lfunc_end0-bluestein_single_back_len1088_dim1_sp_op_CI_CI
                                        ; -- End function
	.section	.AMDGPU.csdata,"",@progbits
; Kernel info:
; codeLenInByte = 20864
; NumSgprs: 22
; NumVgprs: 241
; ScratchSize: 0
; MemoryBound: 0
; FloatMode: 240
; IeeeMode: 1
; LDSByteSize: 26112 bytes/workgroup (compile time only)
; SGPRBlocks: 2
; VGPRBlocks: 60
; NumSGPRsForWavesPerEU: 22
; NumVGPRsForWavesPerEU: 241
; Occupancy: 1
; WaveLimiterHint : 1
; COMPUTE_PGM_RSRC2:SCRATCH_EN: 0
; COMPUTE_PGM_RSRC2:USER_SGPR: 6
; COMPUTE_PGM_RSRC2:TRAP_HANDLER: 0
; COMPUTE_PGM_RSRC2:TGID_X_EN: 1
; COMPUTE_PGM_RSRC2:TGID_Y_EN: 0
; COMPUTE_PGM_RSRC2:TGID_Z_EN: 0
; COMPUTE_PGM_RSRC2:TIDIG_COMP_CNT: 0
	.type	__hip_cuid_398542b1caa0ae11,@object ; @__hip_cuid_398542b1caa0ae11
	.section	.bss,"aw",@nobits
	.globl	__hip_cuid_398542b1caa0ae11
__hip_cuid_398542b1caa0ae11:
	.byte	0                               ; 0x0
	.size	__hip_cuid_398542b1caa0ae11, 1

	.ident	"AMD clang version 19.0.0git (https://github.com/RadeonOpenCompute/llvm-project roc-6.4.0 25133 c7fe45cf4b819c5991fe208aaa96edf142730f1d)"
	.section	".note.GNU-stack","",@progbits
	.addrsig
	.addrsig_sym __hip_cuid_398542b1caa0ae11
	.amdgpu_metadata
---
amdhsa.kernels:
  - .args:
      - .actual_access:  read_only
        .address_space:  global
        .offset:         0
        .size:           8
        .value_kind:     global_buffer
      - .actual_access:  read_only
        .address_space:  global
        .offset:         8
        .size:           8
        .value_kind:     global_buffer
      - .actual_access:  read_only
        .address_space:  global
        .offset:         16
        .size:           8
        .value_kind:     global_buffer
      - .actual_access:  read_only
        .address_space:  global
        .offset:         24
        .size:           8
        .value_kind:     global_buffer
      - .actual_access:  read_only
        .address_space:  global
        .offset:         32
        .size:           8
        .value_kind:     global_buffer
      - .offset:         40
        .size:           8
        .value_kind:     by_value
      - .address_space:  global
        .offset:         48
        .size:           8
        .value_kind:     global_buffer
      - .address_space:  global
        .offset:         56
        .size:           8
        .value_kind:     global_buffer
      - .address_space:  global
        .offset:         64
        .size:           8
        .value_kind:     global_buffer
      - .address_space:  global
        .offset:         72
        .size:           8
        .value_kind:     global_buffer
      - .offset:         80
        .size:           4
        .value_kind:     by_value
      - .address_space:  global
        .offset:         88
        .size:           8
        .value_kind:     global_buffer
      - .address_space:  global
        .offset:         96
        .size:           8
        .value_kind:     global_buffer
    .group_segment_fixed_size: 26112
    .kernarg_segment_align: 8
    .kernarg_segment_size: 104
    .language:       OpenCL C
    .language_version:
      - 2
      - 0
    .max_flat_workgroup_size: 204
    .name:           bluestein_single_back_len1088_dim1_sp_op_CI_CI
    .private_segment_fixed_size: 0
    .sgpr_count:     22
    .sgpr_spill_count: 0
    .symbol:         bluestein_single_back_len1088_dim1_sp_op_CI_CI.kd
    .uniform_work_group_size: 1
    .uses_dynamic_stack: false
    .vgpr_count:     241
    .vgpr_spill_count: 0
    .wavefront_size: 64
amdhsa.target:   amdgcn-amd-amdhsa--gfx906
amdhsa.version:
  - 1
  - 2
...

	.end_amdgpu_metadata
